;; amdgpu-corpus repo=ROCm/rocFFT kind=compiled arch=gfx950 opt=O3
	.text
	.amdgcn_target "amdgcn-amd-amdhsa--gfx950"
	.amdhsa_code_object_version 6
	.protected	bluestein_single_back_len1188_dim1_dp_op_CI_CI ; -- Begin function bluestein_single_back_len1188_dim1_dp_op_CI_CI
	.globl	bluestein_single_back_len1188_dim1_dp_op_CI_CI
	.p2align	8
	.type	bluestein_single_back_len1188_dim1_dp_op_CI_CI,@function
bluestein_single_back_len1188_dim1_dp_op_CI_CI: ; @bluestein_single_back_len1188_dim1_dp_op_CI_CI
; %bb.0:
	s_load_dwordx4 s[16:19], s[0:1], 0x28
	v_mul_u32_u24_e32 v1, 0x3e1, v0
	v_lshrrev_b32_e32 v2, 16, v1
	v_mad_u64_u32 v[20:21], s[2:3], s2, 3, v[2:3]
	v_mov_b32_e32 v115, 0
	v_mov_b32_e32 v21, v115
	s_waitcnt lgkmcnt(0)
	v_cmp_gt_u64_e32 vcc, s[16:17], v[20:21]
	s_and_saveexec_b64 s[2:3], vcc
	s_cbranch_execz .LBB0_10
; %bb.1:
	s_load_dwordx4 s[4:7], s[0:1], 0x18
	s_load_dwordx4 s[8:11], s[0:1], 0x0
	v_mul_lo_u16_e32 v1, 0x42, v2
	v_sub_u16_e32 v114, v0, v1
	v_mov_b32_e32 v4, s18
	s_waitcnt lgkmcnt(0)
	s_load_dwordx4 s[12:15], s[4:5], 0x0
	v_mov_b32_e32 v5, s19
	v_lshlrev_b32_e32 v56, 4, v114
	v_mov_b32_e32 v14, 0xc60
	global_load_dwordx4 v[42:45], v56, s[8:9]
	s_waitcnt lgkmcnt(0)
	v_mad_u64_u32 v[0:1], s[2:3], s14, v20, 0
	v_mov_b32_e32 v2, v1
	v_mad_u64_u32 v[2:3], s[2:3], s15, v20, v[2:3]
	v_mov_b32_e32 v1, v2
	;; [unrolled: 2-line block ×4, first 2 shown]
	v_lshl_add_u64 v[0:1], v[0:1], 4, v[4:5]
	v_lshl_add_u64 v[4:5], v[2:3], 4, v[0:1]
	global_load_dwordx4 v[0:3], v[4:5], off
	v_mad_u64_u32 v[8:9], s[2:3], s12, v14, v[4:5]
	s_mul_i32 s14, s13, 0xc60
	v_add_u32_e32 v9, s14, v9
	global_load_dwordx4 v[58:61], v56, s[8:9] offset:3168
	global_load_dwordx4 v[4:7], v[8:9], off
	v_mov_b32_e32 v57, v115
	s_movk_i32 s4, 0x1000
	v_lshl_add_u64 v[52:53], s[8:9], 0, v[56:57]
	v_add_co_u32_e32 v12, vcc, s4, v52
	s_load_dwordx2 s[2:3], s[0:1], 0x38
	s_movk_i32 s0, 0x2000
	v_addc_co_u32_e32 v13, vcc, 0, v53, vcc
	v_mad_u64_u32 v[16:17], s[4:5], s12, v14, v[8:9]
	v_add_co_u32_e32 v66, vcc, s0, v52
	s_movk_i32 s1, 0x3000
	v_add_u32_e32 v17, s14, v17
	v_addc_co_u32_e32 v67, vcc, 0, v53, vcc
	s_mul_i32 s0, s13, 0xffffc640
	s_mov_b32 s15, 0xaaaaaaab
	v_add_co_u32_e32 v68, vcc, s1, v52
	s_sub_i32 s13, s0, s12
	v_mad_u64_u32 v[24:25], s[0:1], s12, v14, v[16:17]
	v_mul_hi_u32 v18, v20, s15
	v_add_u32_e32 v25, s14, v25
	global_load_dwordx4 v[88:91], v[12:13], off offset:2240
	global_load_dwordx4 v[8:11], v[16:17], off
	v_lshrrev_b32_e32 v18, 1, v18
	v_mad_u64_u32 v[26:27], s[0:1], s12, v14, v[24:25]
	v_lshl_add_u32 v18, v18, 1, v18
	v_add_u32_e32 v27, s14, v27
	v_sub_u32_e32 v18, v20, v18
	v_mad_u64_u32 v[28:29], s[0:1], s12, v14, v[26:27]
	v_mov_b32_e32 v15, 0xffffc640
	v_accvgpr_write_b32 a42, v20
	s_load_dwordx4 s[4:7], s[6:7], 0x0
	v_mul_u32_u24_e32 v57, 0x4a4, v18
	global_load_dwordx4 v[76:79], v56, s[8:9] offset:1056
	global_load_dwordx4 v[84:87], v56, s[8:9] offset:2112
	v_addc_co_u32_e32 v69, vcc, 0, v53, vcc
	global_load_dwordx4 v[140:143], v[66:67], off offset:1312
	global_load_dwordx4 v[136:139], v[68:69], off offset:384
	;; [unrolled: 1-line block ×4, first 2 shown]
	global_load_dwordx4 v[16:19], v[24:25], off
	global_load_dwordx4 v[20:23], v[26:27], off
	v_add_u32_e32 v29, s14, v29
	v_mad_u64_u32 v[32:33], s[0:1], s12, v15, v[28:29]
	v_add_u32_e32 v33, s13, v33
	global_load_dwordx4 v[24:27], v[28:29], off
	v_mad_u64_u32 v[40:41], s[0:1], s12, v14, v[32:33]
	v_lshlrev_b32_e32 v80, 4, v57
	v_add_u32_e32 v41, s14, v41
	v_add_u32_e32 v83, v56, v80
	global_load_dwordx4 v[28:31], v[32:33], off
                                        ; implicit-def: $vgpr168_vgpr169
                                        ; implicit-def: $vgpr176_vgpr177
                                        ; implicit-def: $vgpr172_vgpr173
                                        ; implicit-def: $vgpr180_vgpr181
	s_waitcnt vmcnt(15)
	v_accvgpr_write_b32 a10, v42
	global_load_dwordx4 v[32:35], v[40:41], off
	v_accvgpr_write_b32 a11, v43
	v_accvgpr_write_b32 a12, v44
	;; [unrolled: 1-line block ×3, first 2 shown]
	s_waitcnt vmcnt(15)
	v_mul_f64 v[36:37], v[2:3], v[44:45]
	v_mul_f64 v[38:39], v[0:1], v[44:45]
	v_fmac_f64_e32 v[36:37], v[0:1], v[42:43]
	v_fma_f64 v[38:39], v[2:3], v[42:43], -v[38:39]
	ds_write_b128 v83, v[36:39]
	s_waitcnt vmcnt(13)
	v_mul_f64 v[0:1], v[6:7], v[60:61]
	v_mul_f64 v[2:3], v[4:5], v[60:61]
	v_fmac_f64_e32 v[0:1], v[4:5], v[58:59]
	v_mad_u64_u32 v[4:5], s[0:1], s12, v14, v[40:41]
	v_add_u32_e32 v5, s14, v5
	global_load_dwordx4 v[36:39], v[4:5], off
	global_load_dwordx4 v[120:123], v[12:13], off offset:3296
	v_mad_u64_u32 v[4:5], s[0:1], s12, v14, v[4:5]
	v_add_u32_e32 v5, s14, v5
	global_load_dwordx4 v[40:43], v[4:5], off
	global_load_dwordx4 v[108:111], v[66:67], off offset:2368
	;; [unrolled: 4-line block ×3, first 2 shown]
	v_mad_u64_u32 v[4:5], s[0:1], s12, v14, v[4:5]
	s_movk_i32 s0, 0x4000
	s_nop 0
	v_add_co_u32_e32 v74, vcc, s0, v52
	v_add_u32_e32 v5, s14, v5
	s_nop 0
	v_addc_co_u32_e32 v75, vcc, 0, v53, vcc
	v_fma_f64 v[2:3], v[6:7], v[58:59], -v[2:3]
	global_load_dwordx4 v[48:51], v[4:5], off
	global_load_dwordx4 v[92:95], v[74:75], off offset:512
	ds_write_b128 v83, v[0:3] offset:3168
	v_mad_u64_u32 v[2:3], s[0:1], s12, v15, v[4:5]
	v_add_u32_e32 v3, s13, v3
	global_load_dwordx4 v[4:7], v[2:3], off
	v_mad_u64_u32 v[2:3], s[0:1], s12, v14, v[2:3]
	v_add_u32_e32 v3, s14, v3
	global_load_dwordx4 v[52:55], v[2:3], off
	global_load_dwordx4 v[100:103], v[12:13], off offset:1184
	v_mad_u64_u32 v[2:3], s[0:1], s12, v14, v[2:3]
	v_accvgpr_write_b32 a0, v58
	v_add_u32_e32 v3, s14, v3
	v_accvgpr_write_b32 a1, v59
	v_accvgpr_write_b32 a2, v60
	;; [unrolled: 1-line block ×3, first 2 shown]
	global_load_dwordx4 v[58:61], v[2:3], off
	global_load_dwordx4 v[116:119], v[66:67], off offset:256
	v_mad_u64_u32 v[2:3], s[0:1], s12, v14, v[2:3]
	v_add_u32_e32 v3, s14, v3
	global_load_dwordx4 v[62:65], v[2:3], off
	global_load_dwordx4 v[128:131], v[66:67], off offset:3424
	v_mad_u64_u32 v[2:3], s[0:1], s12, v14, v[2:3]
	v_add_u32_e32 v3, s14, v3
	global_load_dwordx4 v[70:73], v[2:3], off
	s_nop 0
	global_load_dwordx4 v[66:69], v[68:69], off offset:2496
	v_mad_u64_u32 v[2:3], s[0:1], s12, v14, v[2:3]
	v_add_u32_e32 v3, s14, v3
	global_load_dwordx4 v[12:15], v[2:3], off
	global_load_dwordx4 v[132:135], v[74:75], off offset:1568
	s_waitcnt vmcnt(30)
	v_mul_f64 v[0:1], v[10:11], v[90:91]
	v_mul_f64 v[2:3], v[8:9], v[90:91]
	v_fmac_f64_e32 v[0:1], v[8:9], v[88:89]
	v_fma_f64 v[2:3], v[10:11], v[88:89], -v[2:3]
	ds_write_b128 v83, v[0:3] offset:6336
	s_waitcnt vmcnt(23)
	v_mul_f64 v[0:1], v[18:19], v[142:143]
	v_mul_f64 v[2:3], v[16:17], v[142:143]
	v_fmac_f64_e32 v[0:1], v[16:17], v[140:141]
	v_fma_f64 v[2:3], v[18:19], v[140:141], -v[2:3]
	ds_write_b128 v83, v[0:3] offset:9504
	;; [unrolled: 6-line block ×6, first 2 shown]
	s_mov_b64 s[0:1], 0x42
	s_waitcnt vmcnt(17)
	v_mul_f64 v[0:1], v[38:39], v[122:123]
	v_mul_f64 v[2:3], v[36:37], v[122:123]
	v_fmac_f64_e32 v[0:1], v[36:37], v[120:121]
	v_fma_f64 v[2:3], v[38:39], v[120:121], -v[2:3]
	ds_write_b128 v83, v[0:3] offset:7392
	s_waitcnt vmcnt(15)
	v_mul_f64 v[0:1], v[42:43], v[110:111]
	v_mul_f64 v[2:3], v[40:41], v[110:111]
	v_fmac_f64_e32 v[0:1], v[40:41], v[108:109]
	v_fma_f64 v[2:3], v[42:43], v[108:109], -v[2:3]
	ds_write_b128 v83, v[0:3] offset:10560
	s_waitcnt vmcnt(13)
	v_mul_f64 v[0:1], v[46:47], v[106:107]
	v_mul_f64 v[2:3], v[44:45], v[106:107]
	v_fmac_f64_e32 v[0:1], v[44:45], v[104:105]
	v_fma_f64 v[2:3], v[46:47], v[104:105], -v[2:3]
	ds_write_b128 v83, v[0:3] offset:13728
	v_accvgpr_write_b32 a4, v76
	v_lshl_add_u64 v[112:113], v[114:115], 0, s[0:1]
	v_accvgpr_write_b32 a5, v77
	v_accvgpr_write_b32 a6, v78
	s_waitcnt vmcnt(11)
	v_mul_f64 v[0:1], v[50:51], v[94:95]
	v_mul_f64 v[2:3], v[48:49], v[94:95]
	v_fmac_f64_e32 v[0:1], v[48:49], v[92:93]
	v_fma_f64 v[2:3], v[50:51], v[92:93], -v[2:3]
	ds_write_b128 v83, v[0:3] offset:16896
	s_waitcnt vmcnt(10)
	v_mul_f64 v[0:1], v[6:7], v[86:87]
	v_mul_f64 v[2:3], v[4:5], v[86:87]
	v_fmac_f64_e32 v[0:1], v[4:5], v[84:85]
	v_fma_f64 v[2:3], v[6:7], v[84:85], -v[2:3]
	ds_write_b128 v83, v[0:3] offset:2112
	;; [unrolled: 6-line block ×3, first 2 shown]
	v_accvgpr_write_b32 a7, v79
	v_accvgpr_write_b32 a34, v104
	s_waitcnt vmcnt(6)
	v_mul_f64 v[0:1], v[60:61], v[118:119]
	v_mul_f64 v[2:3], v[58:59], v[118:119]
	v_fmac_f64_e32 v[0:1], v[58:59], v[116:117]
	v_fma_f64 v[2:3], v[60:61], v[116:117], -v[2:3]
	ds_write_b128 v83, v[0:3] offset:8448
	s_waitcnt vmcnt(4)
	v_mul_f64 v[0:1], v[64:65], v[130:131]
	v_mul_f64 v[2:3], v[62:63], v[130:131]
	v_fmac_f64_e32 v[0:1], v[62:63], v[128:129]
	v_fma_f64 v[2:3], v[64:65], v[128:129], -v[2:3]
	ds_write_b128 v83, v[0:3] offset:11616
	;; [unrolled: 6-line block ×3, first 2 shown]
	s_waitcnt vmcnt(0)
	v_mul_f64 v[0:1], v[14:15], v[134:135]
	v_mul_f64 v[2:3], v[12:13], v[134:135]
	v_accvgpr_write_b32 a44, v116
	v_fmac_f64_e32 v[0:1], v[12:13], v[132:133]
	v_fma_f64 v[2:3], v[14:15], v[132:133], -v[2:3]
	s_mov_b64 s[0:1], 0x84
	v_accvgpr_write_b32 a45, v117
	v_accvgpr_write_b32 a46, v118
	;; [unrolled: 1-line block ×3, first 2 shown]
	v_mov_b32_e32 v116, v80
	ds_write_b128 v83, v[0:3] offset:17952
	s_waitcnt lgkmcnt(0)
	s_barrier
	ds_read_b128 v[8:11], v83
	ds_read_b128 v[0:3], v83 offset:1056
	ds_read_b128 v[12:15], v83 offset:6336
	;; [unrolled: 1-line block ×17, first 2 shown]
	s_waitcnt lgkmcnt(13)
	v_add_f64 v[54:55], v[12:13], v[26:27]
	s_mov_b32 s12, 0xe8584caa
	v_accvgpr_write_b32 a35, v105
	v_accvgpr_write_b32 a36, v106
	;; [unrolled: 1-line block ×3, first 2 shown]
	v_lshl_add_u64 v[104:105], v[114:115], 0, s[0:1]
	v_accvgpr_write_b32 a60, v66
	v_add_f64 v[16:17], v[8:9], v[12:13]
	v_fmac_f64_e32 v[8:9], -0.5, v[54:55]
	v_add_f64 v[54:55], v[14:15], -v[28:29]
	s_mov_b32 s13, 0x3febb67a
	s_mov_b32 s1, 0xbfebb67a
	s_mov_b32 s0, s12
	v_accvgpr_write_b32 a61, v67
	v_accvgpr_write_b32 a62, v68
	;; [unrolled: 1-line block ×3, first 2 shown]
	v_fma_f64 v[66:67], s[12:13], v[54:55], v[8:9]
	v_fmac_f64_e32 v[8:9], s[0:1], v[54:55]
	v_add_f64 v[54:55], v[10:11], v[14:15]
	v_add_f64 v[14:15], v[14:15], v[28:29]
	;; [unrolled: 1-line block ×3, first 2 shown]
	v_fmac_f64_e32 v[10:11], -0.5, v[14:15]
	v_add_f64 v[12:13], v[12:13], -v[26:27]
	s_waitcnt lgkmcnt(3)
	v_add_f64 v[26:27], v[42:43], v[62:63]
	v_fma_f64 v[14:15], s[0:1], v[12:13], v[10:11]
	v_fmac_f64_e32 v[10:11], s[12:13], v[12:13]
	v_add_f64 v[12:13], v[34:35], v[42:43]
	v_fmac_f64_e32 v[34:35], -0.5, v[26:27]
	v_add_f64 v[26:27], v[44:45], -v[64:65]
	v_add_f64 v[54:55], v[54:55], v[28:29]
	v_fma_f64 v[28:29], s[12:13], v[26:27], v[34:35]
	v_fmac_f64_e32 v[34:35], s[0:1], v[26:27]
	v_add_f64 v[26:27], v[36:37], v[44:45]
	v_add_f64 v[44:45], v[44:45], v[64:65]
	v_fmac_f64_e32 v[36:37], -0.5, v[44:45]
	v_add_f64 v[42:43], v[42:43], -v[62:63]
	v_accvgpr_write_b32 a18, v88
	v_accvgpr_write_b32 a22, v92
	v_add_f64 v[26:27], v[26:27], v[64:65]
	v_fma_f64 v[64:65], s[0:1], v[42:43], v[36:37]
	v_fmac_f64_e32 v[36:37], s[12:13], v[42:43]
	v_accvgpr_write_b32 a19, v89
	v_accvgpr_write_b32 a20, v90
	;; [unrolled: 1-line block ×6, first 2 shown]
	v_mul_f64 v[88:89], v[64:65], s[12:13]
	v_mul_f64 v[94:95], v[36:37], -0.5
	v_accvgpr_write_b32 a14, v84
	v_fmac_f64_e32 v[88:89], 0.5, v[28:29]
	v_mul_f64 v[90:91], v[34:35], -0.5
	v_mul_f64 v[28:29], v[28:29], s[0:1]
	v_fmac_f64_e32 v[94:95], s[0:1], v[34:35]
	v_accvgpr_write_b32 a15, v85
	v_accvgpr_write_b32 a16, v86
	;; [unrolled: 1-line block ×3, first 2 shown]
	v_fmac_f64_e32 v[90:91], s[12:13], v[36:37]
	v_fmac_f64_e32 v[28:29], 0.5, v[64:65]
	v_add_f64 v[86:87], v[10:11], v[94:95]
	v_add_f64 v[94:95], v[10:11], -v[94:95]
	v_add_f64 v[10:11], v[22:23], v[30:31]
	v_add_f64 v[12:13], v[12:13], v[62:63]
	;; [unrolled: 1-line block ×4, first 2 shown]
	v_add_f64 v[92:93], v[8:9], -v[90:91]
	v_add_f64 v[90:91], v[14:15], -v[28:29]
	v_add_f64 v[8:9], v[0:1], v[22:23]
	v_fmac_f64_e32 v[0:1], -0.5, v[10:11]
	v_add_f64 v[10:11], v[24:25], -v[32:33]
	v_add_f64 v[14:15], v[24:25], v[32:33]
	v_add_f64 v[42:43], v[16:17], v[12:13]
	v_add_f64 v[34:35], v[16:17], -v[12:13]
	v_fma_f64 v[12:13], s[12:13], v[10:11], v[0:1]
	v_fmac_f64_e32 v[0:1], s[0:1], v[10:11]
	v_add_f64 v[10:11], v[2:3], v[24:25]
	v_fmac_f64_e32 v[2:3], -0.5, v[14:15]
	v_add_f64 v[14:15], v[22:23], -v[30:31]
	s_waitcnt lgkmcnt(1)
	v_add_f64 v[22:23], v[50:51], v[74:75]
	v_add_f64 v[44:45], v[54:55], v[26:27]
	v_add_f64 v[36:37], v[54:55], -v[26:27]
	v_fma_f64 v[16:17], s[0:1], v[14:15], v[2:3]
	v_fmac_f64_e32 v[2:3], s[12:13], v[14:15]
	v_add_f64 v[14:15], v[38:39], v[50:51]
	v_fmac_f64_e32 v[38:39], -0.5, v[22:23]
	v_add_f64 v[22:23], v[52:53], -v[76:77]
	v_add_f64 v[26:27], v[52:53], v[76:77]
	v_fma_f64 v[24:25], s[12:13], v[22:23], v[38:39]
	v_fmac_f64_e32 v[38:39], s[0:1], v[22:23]
	v_add_f64 v[22:23], v[40:41], v[52:53]
	v_fmac_f64_e32 v[40:41], -0.5, v[26:27]
	v_add_f64 v[26:27], v[50:51], -v[74:75]
	v_fma_f64 v[28:29], s[0:1], v[26:27], v[40:41]
	v_fmac_f64_e32 v[40:41], s[12:13], v[26:27]
	v_mul_f64 v[26:27], v[28:29], s[12:13]
	v_fmac_f64_e32 v[26:27], 0.5, v[24:25]
	v_mul_f64 v[24:25], v[24:25], s[0:1]
	v_add_f64 v[8:9], v[8:9], v[30:31]
	v_add_f64 v[14:15], v[14:15], v[74:75]
	v_fmac_f64_e32 v[24:25], 0.5, v[28:29]
	v_mul_f64 v[28:29], v[40:41], -0.5
	v_add_f64 v[10:11], v[10:11], v[32:33]
	v_add_f64 v[22:23], v[22:23], v[76:77]
	;; [unrolled: 1-line block ×3, first 2 shown]
	v_mul_f64 v[30:31], v[38:39], -0.5
	v_fmac_f64_e32 v[28:29], s[0:1], v[38:39]
	v_add_f64 v[38:39], v[8:9], -v[14:15]
	v_add_f64 v[8:9], v[4:5], v[46:47]
	v_fmac_f64_e32 v[30:31], s[12:13], v[40:41]
	v_add_f64 v[52:53], v[10:11], v[22:23]
	v_add_f64 v[40:41], v[10:11], -v[22:23]
	v_add_f64 v[22:23], v[8:9], v[70:71]
	v_add_f64 v[8:9], v[46:47], v[70:71]
	v_accvgpr_write_b32 a30, v100
	v_fmac_f64_e32 v[4:5], -0.5, v[8:9]
	v_add_f64 v[8:9], v[48:49], -v[72:73]
	v_accvgpr_write_b32 a31, v101
	v_accvgpr_write_b32 a32, v102
	;; [unrolled: 1-line block ×3, first 2 shown]
	v_add_f64 v[76:77], v[16:17], v[24:25]
	v_add_f64 v[102:103], v[16:17], -v[24:25]
	v_fma_f64 v[24:25], s[12:13], v[8:9], v[4:5]
	v_fmac_f64_e32 v[4:5], s[0:1], v[8:9]
	v_add_f64 v[8:9], v[6:7], v[48:49]
	v_add_f64 v[74:75], v[12:13], v[26:27]
	v_add_f64 v[100:101], v[12:13], -v[26:27]
	v_add_f64 v[26:27], v[8:9], v[72:73]
	v_add_f64 v[8:9], v[48:49], v[72:73]
	v_accvgpr_write_b32 a26, v96
	v_fmac_f64_e32 v[6:7], -0.5, v[8:9]
	v_add_f64 v[8:9], v[46:47], -v[70:71]
	v_accvgpr_write_b32 a27, v97
	v_accvgpr_write_b32 a28, v98
	;; [unrolled: 1-line block ×3, first 2 shown]
	v_add_f64 v[96:97], v[0:1], v[30:31]
	v_add_f64 v[0:1], v[0:1], -v[30:31]
	v_fma_f64 v[30:31], s[0:1], v[8:9], v[6:7]
	v_fmac_f64_e32 v[6:7], s[12:13], v[8:9]
	v_add_f64 v[8:9], v[18:19], v[58:59]
	v_add_f64 v[98:99], v[2:3], v[28:29]
	v_add_f64 v[2:3], v[2:3], -v[28:29]
	s_waitcnt lgkmcnt(0)
	v_add_f64 v[28:29], v[8:9], v[78:79]
	v_add_f64 v[8:9], v[58:59], v[78:79]
	v_fmac_f64_e32 v[18:19], -0.5, v[8:9]
	v_add_f64 v[8:9], v[60:61], -v[80:81]
	v_fma_f64 v[14:15], s[12:13], v[8:9], v[18:19]
	v_fmac_f64_e32 v[18:19], s[0:1], v[8:9]
	v_add_f64 v[8:9], v[20:21], v[60:61]
	v_add_f64 v[32:33], v[8:9], v[80:81]
	;; [unrolled: 1-line block ×3, first 2 shown]
	v_fmac_f64_e32 v[20:21], -0.5, v[8:9]
	v_add_f64 v[8:9], v[58:59], -v[78:79]
	v_fma_f64 v[46:47], s[0:1], v[8:9], v[20:21]
	v_fmac_f64_e32 v[20:21], s[12:13], v[8:9]
	v_mul_f64 v[54:55], v[18:19], -0.5
	v_fmac_f64_e32 v[54:55], s[12:13], v[20:21]
	v_mul_f64 v[58:59], v[14:15], s[0:1]
	v_accvgpr_write_b32 a52, v124
	v_add_f64 v[8:9], v[22:23], v[28:29]
	v_mul_f64 v[48:49], v[46:47], s[12:13]
	v_add_f64 v[16:17], v[4:5], v[54:55]
	v_fmac_f64_e32 v[58:59], 0.5, v[46:47]
	v_mul_f64 v[46:47], v[20:21], -0.5
	v_add_f64 v[20:21], v[22:23], -v[28:29]
	v_add_f64 v[28:29], v[4:5], -v[54:55]
	v_mul_lo_u16_e32 v4, 6, v114
	v_accvgpr_write_b32 a53, v125
	v_accvgpr_write_b32 a54, v126
	;; [unrolled: 1-line block ×3, first 2 shown]
	v_lshl_add_u32 v126, v4, 4, v116
	v_mul_u32_u24_e32 v4, 6, v112
	v_fmac_f64_e32 v[46:47], s[0:1], v[18:19]
	v_lshl_add_u32 v127, v4, 4, v116
	v_mul_u32_u24_e32 v4, 6, v104
	v_fmac_f64_e32 v[48:49], 0.5, v[14:15]
	v_add_f64 v[10:11], v[26:27], v[32:33]
	v_add_f64 v[14:15], v[30:31], v[58:59]
	v_add_f64 v[22:23], v[26:27], -v[32:33]
	v_add_f64 v[26:27], v[30:31], -v[58:59]
	;; [unrolled: 1-line block ×3, first 2 shown]
	v_lshl_add_u32 v4, v4, 4, v116
	v_add_f64 v[62:63], v[66:67], v[88:89]
	v_add_f64 v[88:89], v[66:67], -v[88:89]
	v_add_f64 v[12:13], v[24:25], v[48:49]
	v_add_f64 v[18:19], v[6:7], v[46:47]
	v_add_f64 v[24:25], v[24:25], -v[48:49]
	s_barrier
	ds_write_b128 v126, v[42:45]
	ds_write_b128 v126, v[62:65] offset:16
	ds_write_b128 v126, v[84:87] offset:32
	;; [unrolled: 1-line block ×5, first 2 shown]
	ds_write_b128 v127, v[50:53]
	ds_write_b128 v127, v[74:77] offset:16
	ds_write_b128 v127, v[96:99] offset:32
	;; [unrolled: 1-line block ×5, first 2 shown]
	ds_write_b128 v4, v[8:11]
	ds_write_b128 v4, v[12:15] offset:16
	ds_write_b128 v4, v[16:19] offset:32
	;; [unrolled: 1-line block ×4, first 2 shown]
	v_accvgpr_write_b32 a119, v4
	ds_write_b128 v4, v[28:31] offset:80
	s_waitcnt lgkmcnt(0)
	s_barrier
	ds_read_b128 v[4:7], v83
	ds_read_b128 v[164:167], v83 offset:1728
	ds_read_b128 v[160:163], v83 offset:3456
	;; [unrolled: 1-line block ×10, first 2 shown]
	v_accvgpr_write_b32 a72, v140
	v_accvgpr_write_b32 a68, v136
	;; [unrolled: 1-line block ×25, first 2 shown]
	v_cmp_gt_u16_e32 vcc, 42, v114
	s_and_saveexec_b64 s[0:1], vcc
	s_cbranch_execz .LBB0_3
; %bb.2:
	ds_read_b128 v[0:3], v83 offset:1056
	ds_read_b128 v[8:11], v83 offset:2784
	;; [unrolled: 1-line block ×11, first 2 shown]
.LBB0_3:
	s_or_b64 exec, exec, s[0:1]
	s_movk_i32 s0, 0xab
	v_mul_lo_u16_sdwa v58, v114, s0 dst_sel:DWORD dst_unused:UNUSED_PAD src0_sel:BYTE_0 src1_sel:DWORD
	v_lshrrev_b16_e32 v69, 10, v58
	v_mul_lo_u16_e32 v58, 6, v69
	v_sub_u16_e32 v82, v114, v58
	v_mov_b32_e32 v58, 10
	v_mul_u32_u24_sdwa v59, v82, v58 dst_sel:DWORD dst_unused:UNUSED_PAD src0_sel:BYTE_0 src1_sel:DWORD
	v_mul_lo_u16_sdwa v60, v112, s0 dst_sel:DWORD dst_unused:UNUSED_PAD src0_sel:BYTE_0 src1_sel:DWORD
	v_lshlrev_b32_e32 v59, 4, v59
	v_lshrrev_b16_e32 v60, 10, v60
	global_load_dwordx4 v[242:245], v59, s[10:11]
	global_load_dwordx4 v[238:241], v59, s[10:11] offset:16
	global_load_dwordx4 v[234:237], v59, s[10:11] offset:32
	;; [unrolled: 1-line block ×7, first 2 shown]
	v_accvgpr_write_b32 a76, v60
	v_mul_lo_u16_e32 v60, 6, v60
	global_load_dwordx4 v[132:135], v59, s[10:11] offset:144
	global_load_dwordx4 v[140:143], v59, s[10:11] offset:128
	v_sub_u16_e32 v59, v112, v60
	v_mul_u32_u24_sdwa v58, v59, v58 dst_sel:DWORD dst_unused:UNUSED_PAD src0_sel:BYTE_0 src1_sel:DWORD
	v_lshlrev_b32_e32 v58, 4, v58
	global_load_dwordx4 v[118:121], v58, s[10:11]
	global_load_dwordx4 v[122:125], v58, s[10:11] offset:16
	global_load_dwordx4 v[198:201], v58, s[10:11] offset:32
	global_load_dwordx4 v[202:205], v58, s[10:11] offset:48
	global_load_dwordx4 v[222:225], v58, s[10:11] offset:64
	global_load_dwordx4 v[218:221], v58, s[10:11] offset:80
	global_load_dwordx4 v[210:213], v58, s[10:11] offset:96
	global_load_dwordx4 v[206:209], v58, s[10:11] offset:112
	global_load_dwordx4 v[226:229], v58, s[10:11] offset:128
	global_load_dwordx4 v[214:217], v58, s[10:11] offset:144
	v_accvgpr_write_b32 a77, v59
	s_mov_b32 s18, 0xf8bb580b
	s_mov_b32 s26, 0x8eee2c13
	;; [unrolled: 1-line block ×28, first 2 shown]
	v_accvgpr_write_b32 a158, v112
	v_mul_u32_u24_e32 v68, 0x42, v69
	v_add_u32_sdwa v68, v68, v82 dst_sel:DWORD dst_unused:UNUSED_PAD src0_sel:DWORD src1_sel:BYTE_0
	v_lshl_add_u32 v82, v68, 4, v116
	s_waitcnt lgkmcnt(0)
	s_barrier
	s_waitcnt vmcnt(19)
	v_mul_f64 v[64:65], v[166:167], v[244:245]
	s_waitcnt vmcnt(18)
	v_mul_f64 v[72:73], v[162:163], v[240:241]
	;; [unrolled: 2-line block ×5, first 2 shown]
	v_mul_f64 v[184:185], v[48:49], v[150:151]
	v_mul_f64 v[58:59], v[8:9], v[120:121]
	v_fma_f64 v[86:87], v[48:49], v[148:149], -v[86:87]
	v_fma_f64 v[48:49], v[8:9], v[118:119], -v[106:107]
	s_waitcnt vmcnt(5)
	v_mul_f64 v[8:9], v[26:27], v[224:225]
	v_fma_f64 v[196:197], v[160:161], v[238:239], -v[72:73]
	v_fma_f64 v[72:73], v[24:25], v[222:223], -v[8:9]
	s_waitcnt vmcnt(4)
	v_mul_f64 v[8:9], v[30:31], v[220:221]
	v_mul_f64 v[76:77], v[154:155], v[232:233]
	v_fma_f64 v[192:193], v[156:157], v[234:235], -v[74:75]
	v_fma_f64 v[74:75], v[28:29], v[218:219], -v[8:9]
	s_waitcnt vmcnt(3)
	v_mul_f64 v[8:9], v[170:171], v[212:213]
	;; [unrolled: 5-line block ×3, first 2 shown]
	v_fma_f64 v[84:85], v[52:53], v[128:129], -v[78:79]
	v_fma_f64 v[78:79], v[176:177], v[206:207], -v[8:9]
	s_waitcnt vmcnt(1)
	v_mul_f64 v[8:9], v[174:175], v[228:229]
	v_mul_f64 v[80:81], v[164:165], v[244:245]
	;; [unrolled: 1-line block ×3, first 2 shown]
	v_fma_f64 v[64:65], v[164:165], v[242:243], -v[64:65]
	v_fma_f64 v[160:161], v[172:173], v[226:227], -v[8:9]
	s_waitcnt vmcnt(0)
	v_mul_f64 v[8:9], v[182:183], v[216:217]
	v_fmac_f64_e32 v[80:81], v[166:167], v[242:243]
	v_fmac_f64_e32 v[92:93], v[162:163], v[238:239]
	v_fma_f64 v[162:163], v[180:181], v[214:215], -v[8:9]
	v_add_f64 v[8:9], v[4:5], v[64:65]
	v_mul_f64 v[188:189], v[156:157], v[236:237]
	v_fmac_f64_e32 v[58:59], v[10:11], v[118:119]
	v_add_f64 v[10:11], v[6:7], v[80:81]
	v_add_f64 v[8:9], v[8:9], v[196:197]
	v_mul_f64 v[88:89], v[152:153], v[232:233]
	v_fmac_f64_e32 v[188:189], v[158:159], v[234:235]
	v_add_f64 v[10:11], v[10:11], v[92:93]
	;; [unrolled: 4-line block ×4, first 2 shown]
	v_add_f64 v[8:9], v[8:9], v[84:85]
	v_mul_f64 v[90:91], v[44:45], v[146:147]
	v_mul_f64 v[96:97], v[42:43], v[138:139]
	;; [unrolled: 1-line block ×3, first 2 shown]
	v_fmac_f64_e32 v[184:185], v[50:51], v[148:149]
	v_fma_f64 v[44:45], v[44:45], v[144:145], -v[94:95]
	v_add_f64 v[10:11], v[10:11], v[70:71]
	v_add_f64 v[8:9], v[8:9], v[86:87]
	v_mul_f64 v[190:191], v[40:41], v[138:139]
	v_mul_f64 v[98:99], v[38:39], v[142:143]
	;; [unrolled: 1-line block ×4, first 2 shown]
	v_fmac_f64_e32 v[90:91], v[46:47], v[144:145]
	v_fma_f64 v[40:41], v[40:41], v[136:137], -v[96:97]
	v_fmac_f64_e32 v[104:105], v[34:35], v[132:133]
	v_add_f64 v[10:11], v[10:11], v[184:185]
	v_add_f64 v[8:9], v[8:9], v[44:45]
	v_mul_f64 v[100:101], v[36:37], v[142:143]
	v_mul_f64 v[108:109], v[14:15], v[124:125]
	;; [unrolled: 1-line block ×5, first 2 shown]
	v_fmac_f64_e32 v[190:191], v[42:43], v[136:137]
	v_fma_f64 v[36:37], v[36:37], v[140:141], -v[98:99]
	v_fma_f64 v[32:33], v[32:33], v[132:133], -v[102:103]
	v_fmac_f64_e32 v[62:63], v[18:19], v[198:199]
	v_add_f64 v[10:11], v[10:11], v[90:91]
	v_add_f64 v[8:9], v[8:9], v[40:41]
	v_add_f64 v[18:19], v[80:81], -v[104:105]
	v_mul_f64 v[66:67], v[20:21], v[204:205]
	v_fmac_f64_e32 v[100:101], v[38:39], v[140:141]
	v_fma_f64 v[50:51], v[12:13], v[122:123], -v[108:109]
	v_fmac_f64_e32 v[60:61], v[14:15], v[122:123]
	v_fma_f64 v[52:53], v[16:17], v[198:199], -v[110:111]
	v_fma_f64 v[54:55], v[20:21], v[202:203], -v[194:195]
	v_mul_f64 v[154:155], v[28:29], v[220:221]
	v_add_f64 v[10:11], v[10:11], v[190:191]
	v_add_f64 v[8:9], v[8:9], v[36:37]
	;; [unrolled: 1-line block ×4, first 2 shown]
	v_add_f64 v[16:17], v[64:65], -v[32:33]
	v_mul_f64 v[20:21], v[18:19], s[18:19]
	v_mul_f64 v[28:29], v[18:19], s[26:27]
	;; [unrolled: 1-line block ×5, first 2 shown]
	v_fmac_f64_e32 v[66:67], v[22:23], v[202:203]
	v_mul_f64 v[152:153], v[24:25], v[224:225]
	v_fmac_f64_e32 v[154:155], v[30:31], v[218:219]
	v_add_f64 v[10:11], v[10:11], v[100:101]
	v_add_f64 v[8:9], v[8:9], v[32:33]
	v_fma_f64 v[22:23], v[12:13], s[0:1], -v[20:21]
	v_mul_f64 v[24:25], v[16:17], s[18:19]
	v_fmac_f64_e32 v[20:21], s[0:1], v[12:13]
	v_fma_f64 v[30:31], v[12:13], s[12:13], -v[28:29]
	v_mul_f64 v[32:33], v[16:17], s[26:27]
	v_fmac_f64_e32 v[28:29], s[12:13], v[12:13]
	;; [unrolled: 3-line block ×5, first 2 shown]
	v_fmac_f64_e32 v[152:153], v[26:27], v[222:223]
	v_add_f64 v[10:11], v[10:11], v[104:105]
	v_add_f64 v[22:23], v[4:5], v[22:23]
	v_fma_f64 v[26:27], s[0:1], v[14:15], v[24:25]
	v_add_f64 v[20:21], v[4:5], v[20:21]
	v_fma_f64 v[24:25], v[14:15], s[0:1], -v[24:25]
	v_add_f64 v[30:31], v[4:5], v[30:31]
	v_fma_f64 v[34:35], s[12:13], v[14:15], v[32:33]
	v_add_f64 v[28:29], v[4:5], v[28:29]
	v_fma_f64 v[32:33], v[14:15], s[12:13], -v[32:33]
	v_add_f64 v[42:43], v[4:5], v[42:43]
	v_fma_f64 v[64:65], s[14:15], v[14:15], v[46:47]
	v_add_f64 v[38:39], v[4:5], v[38:39]
	v_fma_f64 v[46:47], v[14:15], s[14:15], -v[46:47]
	v_add_f64 v[94:95], v[4:5], v[94:95]
	v_fma_f64 v[98:99], s[16:17], v[14:15], v[96:97]
	v_add_f64 v[80:81], v[4:5], v[80:81]
	v_fma_f64 v[96:97], v[14:15], s[16:17], -v[96:97]
	v_add_f64 v[102:103], v[4:5], v[102:103]
	v_fma_f64 v[104:105], s[22:23], v[14:15], v[16:17]
	v_add_f64 v[4:5], v[4:5], v[18:19]
	v_fma_f64 v[12:13], v[14:15], s[22:23], -v[16:17]
	v_add_f64 v[18:19], v[92:93], -v[100:101]
	v_add_f64 v[26:27], v[6:7], v[26:27]
	v_add_f64 v[24:25], v[6:7], v[24:25]
	;; [unrolled: 1-line block ×11, first 2 shown]
	v_add_f64 v[16:17], v[196:197], -v[36:37]
	v_mul_f64 v[36:37], v[18:19], s[26:27]
	v_add_f64 v[14:15], v[92:93], v[100:101]
	v_fma_f64 v[92:93], v[12:13], s[12:13], -v[36:37]
	v_add_f64 v[22:23], v[92:93], v[22:23]
	v_mul_f64 v[92:93], v[16:17], s[26:27]
	v_fmac_f64_e32 v[36:37], s[12:13], v[12:13]
	v_add_f64 v[20:21], v[36:37], v[20:21]
	v_fma_f64 v[36:37], v[14:15], s[12:13], -v[92:93]
	v_add_f64 v[24:25], v[36:37], v[24:25]
	v_mul_f64 v[36:37], v[18:19], s[24:25]
	v_fma_f64 v[100:101], s[12:13], v[14:15], v[92:93]
	v_fma_f64 v[92:93], v[12:13], s[16:17], -v[36:37]
	v_add_f64 v[30:31], v[92:93], v[30:31]
	v_mul_f64 v[92:93], v[16:17], s[24:25]
	v_fmac_f64_e32 v[36:37], s[16:17], v[12:13]
	v_add_f64 v[28:29], v[36:37], v[28:29]
	v_fma_f64 v[36:37], v[14:15], s[16:17], -v[92:93]
	v_add_f64 v[32:33], v[36:37], v[32:33]
	v_mul_f64 v[36:37], v[18:19], s[34:35]
	v_add_f64 v[26:27], v[100:101], v[26:27]
	v_fma_f64 v[100:101], s[16:17], v[14:15], v[92:93]
	v_fma_f64 v[92:93], v[12:13], s[22:23], -v[36:37]
	v_add_f64 v[42:43], v[92:93], v[42:43]
	v_mul_f64 v[92:93], v[16:17], s[34:35]
	v_fmac_f64_e32 v[36:37], s[22:23], v[12:13]
	v_add_f64 v[36:37], v[36:37], v[38:39]
	v_fma_f64 v[38:39], v[14:15], s[22:23], -v[92:93]
	v_add_f64 v[38:39], v[38:39], v[46:47]
	v_mul_f64 v[46:47], v[18:19], s[36:37]
	v_add_f64 v[34:35], v[100:101], v[34:35]
	v_fma_f64 v[100:101], s[22:23], v[14:15], v[92:93]
	v_fma_f64 v[92:93], v[12:13], s[14:15], -v[46:47]
	v_add_f64 v[92:93], v[92:93], v[94:95]
	v_mul_f64 v[94:95], v[16:17], s[36:37]
	v_fmac_f64_e32 v[46:47], s[14:15], v[12:13]
	v_mul_f64 v[18:19], v[18:19], s[30:31]
	v_add_f64 v[64:65], v[100:101], v[64:65]
	v_fma_f64 v[100:101], s[14:15], v[14:15], v[94:95]
	v_add_f64 v[46:47], v[46:47], v[80:81]
	v_fma_f64 v[80:81], v[14:15], s[14:15], -v[94:95]
	v_fma_f64 v[94:95], v[12:13], s[0:1], -v[18:19]
	v_mul_f64 v[16:17], v[16:17], s[30:31]
	v_fmac_f64_e32 v[18:19], s[0:1], v[12:13]
	v_add_f64 v[4:5], v[18:19], v[4:5]
	v_fma_f64 v[12:13], v[14:15], s[0:1], -v[16:17]
	v_add_f64 v[18:19], v[188:189], -v[190:191]
	v_add_f64 v[80:81], v[80:81], v[96:97]
	v_fma_f64 v[96:97], s[0:1], v[14:15], v[16:17]
	v_add_f64 v[6:7], v[12:13], v[6:7]
	v_add_f64 v[12:13], v[192:193], v[40:41]
	v_add_f64 v[16:17], v[192:193], -v[40:41]
	v_mul_f64 v[40:41], v[18:19], s[20:21]
	v_add_f64 v[98:99], v[100:101], v[98:99]
	v_fma_f64 v[100:101], v[12:13], s[14:15], -v[40:41]
	v_add_f64 v[14:15], v[188:189], v[190:191]
	v_add_f64 v[22:23], v[100:101], v[22:23]
	v_mul_f64 v[100:101], v[16:17], s[20:21]
	v_fmac_f64_e32 v[40:41], s[14:15], v[12:13]
	v_add_f64 v[20:21], v[40:41], v[20:21]
	v_fma_f64 v[40:41], v[14:15], s[14:15], -v[100:101]
	v_add_f64 v[24:25], v[40:41], v[24:25]
	v_mul_f64 v[40:41], v[18:19], s[34:35]
	v_add_f64 v[94:95], v[94:95], v[102:103]
	v_fma_f64 v[102:103], s[14:15], v[14:15], v[100:101]
	v_fma_f64 v[100:101], v[12:13], s[22:23], -v[40:41]
	v_add_f64 v[30:31], v[100:101], v[30:31]
	v_mul_f64 v[100:101], v[16:17], s[34:35]
	v_fmac_f64_e32 v[40:41], s[22:23], v[12:13]
	v_add_f64 v[28:29], v[40:41], v[28:29]
	v_fma_f64 v[40:41], v[14:15], s[22:23], -v[100:101]
	v_add_f64 v[32:33], v[40:41], v[32:33]
	v_mul_f64 v[40:41], v[18:19], s[38:39]
	v_add_f64 v[26:27], v[102:103], v[26:27]
	v_fma_f64 v[102:103], s[22:23], v[14:15], v[100:101]
	v_fma_f64 v[100:101], v[12:13], s[12:13], -v[40:41]
	;; [unrolled: 10-line block ×3, first 2 shown]
	v_add_f64 v[92:93], v[100:101], v[92:93]
	v_mul_f64 v[100:101], v[16:17], s[18:19]
	v_fmac_f64_e32 v[40:41], s[0:1], v[12:13]
	v_add_f64 v[40:41], v[40:41], v[46:47]
	v_fma_f64 v[46:47], v[14:15], s[0:1], -v[100:101]
	v_mul_f64 v[18:19], v[18:19], s[24:25]
	v_add_f64 v[46:47], v[46:47], v[80:81]
	v_fma_f64 v[80:81], v[12:13], s[16:17], -v[18:19]
	v_mul_f64 v[16:17], v[16:17], s[24:25]
	v_fmac_f64_e32 v[18:19], s[16:17], v[12:13]
	v_add_f64 v[4:5], v[18:19], v[4:5]
	v_fma_f64 v[12:13], v[14:15], s[16:17], -v[16:17]
	v_add_f64 v[18:19], v[88:89], -v[90:91]
	v_add_f64 v[80:81], v[80:81], v[94:95]
	v_fma_f64 v[94:95], s[16:17], v[14:15], v[16:17]
	v_add_f64 v[6:7], v[12:13], v[6:7]
	v_add_f64 v[12:13], v[186:187], v[44:45]
	v_add_f64 v[16:17], v[186:187], -v[44:45]
	v_mul_f64 v[44:45], v[18:19], s[24:25]
	v_add_f64 v[64:65], v[102:103], v[64:65]
	v_fma_f64 v[102:103], s[0:1], v[14:15], v[100:101]
	v_add_f64 v[14:15], v[88:89], v[90:91]
	v_fma_f64 v[88:89], v[12:13], s[16:17], -v[44:45]
	v_add_f64 v[22:23], v[88:89], v[22:23]
	v_mul_f64 v[88:89], v[16:17], s[24:25]
	v_fmac_f64_e32 v[44:45], s[16:17], v[12:13]
	v_add_f64 v[20:21], v[44:45], v[20:21]
	v_fma_f64 v[44:45], v[14:15], s[16:17], -v[88:89]
	v_add_f64 v[24:25], v[44:45], v[24:25]
	v_mul_f64 v[44:45], v[18:19], s[36:37]
	v_fma_f64 v[90:91], s[16:17], v[14:15], v[88:89]
	v_fma_f64 v[88:89], v[12:13], s[14:15], -v[44:45]
	v_add_f64 v[30:31], v[88:89], v[30:31]
	v_mul_f64 v[88:89], v[16:17], s[36:37]
	v_fmac_f64_e32 v[44:45], s[14:15], v[12:13]
	v_add_f64 v[28:29], v[44:45], v[28:29]
	v_fma_f64 v[44:45], v[14:15], s[14:15], -v[88:89]
	v_add_f64 v[32:33], v[44:45], v[32:33]
	v_mul_f64 v[44:45], v[18:19], s[18:19]
	v_add_f64 v[26:27], v[90:91], v[26:27]
	v_fma_f64 v[90:91], s[14:15], v[14:15], v[88:89]
	v_fma_f64 v[88:89], v[12:13], s[0:1], -v[44:45]
	v_add_f64 v[42:43], v[88:89], v[42:43]
	v_mul_f64 v[88:89], v[16:17], s[18:19]
	v_fmac_f64_e32 v[44:45], s[0:1], v[12:13]
	v_add_f64 v[36:37], v[44:45], v[36:37]
	v_fma_f64 v[44:45], v[14:15], s[0:1], -v[88:89]
	v_add_f64 v[34:35], v[90:91], v[34:35]
	v_fma_f64 v[90:91], s[0:1], v[14:15], v[88:89]
	v_add_f64 v[38:39], v[44:45], v[38:39]
	v_mul_f64 v[44:45], v[18:19], s[28:29]
	v_add_f64 v[64:65], v[90:91], v[64:65]
	v_fma_f64 v[88:89], v[12:13], s[22:23], -v[44:45]
	v_mul_f64 v[90:91], v[16:17], s[28:29]
	v_fmac_f64_e32 v[44:45], s[22:23], v[12:13]
	v_add_f64 v[40:41], v[44:45], v[40:41]
	v_fma_f64 v[44:45], v[14:15], s[22:23], -v[90:91]
	v_mul_f64 v[18:19], v[18:19], s[38:39]
	v_add_f64 v[96:97], v[96:97], v[104:105]
	v_add_f64 v[98:99], v[102:103], v[98:99]
	;; [unrolled: 1-line block ×3, first 2 shown]
	v_fma_f64 v[92:93], s[22:23], v[14:15], v[90:91]
	v_add_f64 v[44:45], v[44:45], v[46:47]
	v_fma_f64 v[46:47], v[12:13], s[12:13], -v[18:19]
	v_mul_f64 v[16:17], v[16:17], s[38:39]
	v_fmac_f64_e32 v[18:19], s[12:13], v[12:13]
	v_add_f64 v[94:95], v[94:95], v[96:97]
	v_add_f64 v[92:93], v[92:93], v[98:99]
	;; [unrolled: 1-line block ×3, first 2 shown]
	v_fma_f64 v[80:81], s[12:13], v[14:15], v[16:17]
	v_add_f64 v[90:91], v[18:19], v[4:5]
	v_fma_f64 v[4:5], v[14:15], s[12:13], -v[16:17]
	v_add_f64 v[98:99], v[70:71], v[184:185]
	v_add_f64 v[70:71], v[70:71], -v[184:185]
	v_add_f64 v[80:81], v[80:81], v[94:95]
	v_add_f64 v[94:95], v[4:5], v[6:7]
	;; [unrolled: 1-line block ×3, first 2 shown]
	v_mul_f64 v[4:5], v[70:71], s[28:29]
	v_add_f64 v[84:85], v[84:85], -v[86:87]
	v_fma_f64 v[6:7], v[96:97], s[22:23], -v[4:5]
	v_add_f64 v[16:17], v[6:7], v[22:23]
	v_mul_f64 v[6:7], v[84:85], s[28:29]
	v_fma_f64 v[12:13], s[22:23], v[98:99], v[6:7]
	v_add_f64 v[18:19], v[12:13], v[26:27]
	v_mul_f64 v[12:13], v[70:71], s[30:31]
	v_fma_f64 v[6:7], v[98:99], s[22:23], -v[6:7]
	v_fma_f64 v[14:15], v[96:97], s[0:1], -v[12:13]
	v_fmac_f64_e32 v[4:5], s[22:23], v[96:97]
	v_add_f64 v[6:7], v[6:7], v[24:25]
	v_add_f64 v[24:25], v[14:15], v[30:31]
	v_mul_f64 v[14:15], v[84:85], s[30:31]
	v_add_f64 v[4:5], v[4:5], v[20:21]
	v_fma_f64 v[20:21], s[0:1], v[98:99], v[14:15]
	v_add_f64 v[26:27], v[20:21], v[34:35]
	v_fma_f64 v[14:15], v[98:99], s[0:1], -v[14:15]
	v_mul_f64 v[20:21], v[70:71], s[24:25]
	v_fmac_f64_e32 v[12:13], s[0:1], v[96:97]
	v_add_f64 v[14:15], v[14:15], v[32:33]
	v_fma_f64 v[22:23], v[96:97], s[16:17], -v[20:21]
	v_mul_f64 v[32:33], v[70:71], s[38:39]
	v_mul_f64 v[166:167], v[180:181], v[216:217]
	v_add_f64 v[12:13], v[12:13], v[28:29]
	v_add_f64 v[28:29], v[22:23], v[42:43]
	v_mul_f64 v[22:23], v[84:85], s[24:25]
	v_fmac_f64_e32 v[20:21], s[16:17], v[96:97]
	v_fma_f64 v[34:35], v[96:97], s[12:13], -v[32:33]
	v_mul_f64 v[164:165], v[172:173], v[228:229]
	v_fmac_f64_e32 v[166:167], v[182:183], v[214:215]
	v_fma_f64 v[30:31], s[16:17], v[98:99], v[22:23]
	v_add_f64 v[20:21], v[20:21], v[36:37]
	v_fma_f64 v[22:23], v[98:99], s[16:17], -v[22:23]
	v_add_f64 v[36:37], v[34:35], v[88:89]
	v_mul_f64 v[34:35], v[84:85], s[38:39]
	v_accvgpr_write_b32 a106, v218
	v_fmac_f64_e32 v[164:165], v[174:175], v[226:227]
	v_add_f64 v[22:23], v[22:23], v[38:39]
	v_fma_f64 v[38:39], s[12:13], v[98:99], v[34:35]
	v_fma_f64 v[34:35], v[98:99], s[12:13], -v[34:35]
	v_add_f64 v[192:193], v[58:59], -v[166:167]
	v_accvgpr_write_b32 a90, v202
	v_accvgpr_write_b32 a107, v219
	;; [unrolled: 1-line block ×4, first 2 shown]
	v_mul_f64 v[156:157], v[168:169], v[212:213]
	v_mul_f64 v[158:159], v[176:177], v[208:209]
	v_fmac_f64_e32 v[32:33], s[12:13], v[96:97]
	v_add_f64 v[34:35], v[34:35], v[44:45]
	v_mul_f64 v[44:45], v[70:71], s[20:21]
	v_add_f64 v[186:187], v[48:49], v[162:163]
	v_add_f64 v[86:87], v[48:49], -v[162:163]
	v_mul_f64 v[168:169], v[192:193], s[18:19]
	v_add_f64 v[218:219], v[60:61], -v[164:165]
	v_accvgpr_write_b32 a124, v234
	v_accvgpr_write_b32 a91, v203
	;; [unrolled: 1-line block ×5, first 2 shown]
	v_fmac_f64_e32 v[156:157], v[170:171], v[210:211]
	v_fmac_f64_e32 v[158:159], v[178:179], v[206:207]
	v_add_f64 v[30:31], v[30:31], v[64:65]
	v_add_f64 v[32:33], v[32:33], v[40:41]
	v_fma_f64 v[40:41], v[96:97], s[14:15], -v[44:45]
	v_add_f64 v[204:205], v[58:59], v[166:167]
	v_mul_f64 v[170:171], v[86:87], s[18:19]
	v_fma_f64 v[64:65], s[0:1], v[186:187], v[168:169]
	v_add_f64 v[88:89], v[50:51], v[160:161]
	v_add_f64 v[194:195], v[50:51], -v[160:161]
	v_mul_f64 v[174:175], v[218:219], s[26:27]
	v_accvgpr_write_b32 a125, v235
	v_accvgpr_write_b32 a126, v236
	;; [unrolled: 1-line block ×7, first 2 shown]
	v_add_f64 v[40:41], v[40:41], v[46:47]
	v_mul_f64 v[46:47], v[84:85], s[20:21]
	v_add_f64 v[64:65], v[0:1], v[64:65]
	v_fma_f64 v[70:71], v[204:205], s[0:1], -v[170:171]
	v_add_f64 v[224:225], v[60:61], v[164:165]
	v_mul_f64 v[178:179], v[194:195], s[26:27]
	v_fma_f64 v[84:85], s[12:13], v[88:89], v[174:175]
	v_add_f64 v[236:237], v[62:63], -v[158:159]
	v_accvgpr_write_b32 a103, v215
	v_accvgpr_write_b32 a104, v216
	;; [unrolled: 1-line block ×3, first 2 shown]
	v_add_f64 v[70:71], v[2:3], v[70:71]
	v_add_f64 v[64:65], v[84:85], v[64:65]
	v_fma_f64 v[84:85], v[224:225], s[12:13], -v[178:179]
	v_add_f64 v[196:197], v[52:53], v[78:79]
	v_add_f64 v[214:215], v[52:53], -v[78:79]
	v_mul_f64 v[180:181], v[236:237], s[20:21]
	v_accvgpr_write_b32 a128, v238
	v_accvgpr_write_b32 a98, v210
	v_add_f64 v[70:71], v[84:85], v[70:71]
	v_add_f64 v[250:251], v[62:63], v[158:159]
	v_mul_f64 v[182:183], v[214:215], s[20:21]
	v_fma_f64 v[84:85], s[14:15], v[196:197], v[180:181]
	v_add_f64 v[254:255], v[66:67], -v[156:157]
	v_accvgpr_write_b32 a129, v239
	v_accvgpr_write_b32 a130, v240
	;; [unrolled: 1-line block ×7, first 2 shown]
	v_add_f64 v[64:65], v[84:85], v[64:65]
	v_fma_f64 v[84:85], v[250:251], s[14:15], -v[182:183]
	v_add_f64 v[212:213], v[54:55], v[76:77]
	v_add_f64 v[238:239], v[54:55], -v[76:77]
	v_mul_f64 v[184:185], v[254:255], s[24:25]
	v_accvgpr_write_b32 a115, v227
	v_accvgpr_write_b32 a116, v228
	;; [unrolled: 1-line block ×3, first 2 shown]
	v_add_f64 v[70:71], v[84:85], v[70:71]
	v_add_f64 v[226:227], v[66:67], v[156:157]
	v_mul_f64 v[188:189], v[238:239], s[24:25]
	v_fma_f64 v[84:85], s[16:17], v[212:213], v[184:185]
	v_add_f64 v[64:65], v[84:85], v[64:65]
	v_fma_f64 v[84:85], v[226:227], s[16:17], -v[188:189]
	v_add_f64 v[106:107], v[152:153], -v[154:155]
	v_accvgpr_write_b32 a120, v230
	v_add_f64 v[38:39], v[38:39], v[92:93]
	v_fma_f64 v[42:43], s[14:15], v[98:99], v[46:47]
	v_fmac_f64_e32 v[44:45], s[14:15], v[96:97]
	v_fma_f64 v[46:47], v[98:99], s[14:15], -v[46:47]
	v_add_f64 v[70:71], v[84:85], v[70:71]
	v_add_f64 v[228:229], v[72:73], v[74:75]
	v_add_f64 v[92:93], v[72:73], -v[74:75]
	v_mul_f64 v[84:85], v[106:107], s[28:29]
	v_accvgpr_write_b32 a121, v231
	v_accvgpr_write_b32 a122, v232
	v_accvgpr_write_b32 a123, v233
	v_add_f64 v[44:45], v[44:45], v[90:91]
	v_add_f64 v[46:47], v[46:47], v[94:95]
	v_mul_f64 v[172:173], v[192:193], s[26:27]
	v_add_f64 v[230:231], v[152:153], v[154:155]
	v_mul_f64 v[90:91], v[92:93], s[28:29]
	v_fma_f64 v[94:95], s[22:23], v[228:229], v[84:85]
	v_add_f64 v[42:43], v[42:43], v[80:81]
	v_mul_f64 v[176:177], v[86:87], s[26:27]
	v_fma_f64 v[80:81], s[12:13], v[186:187], v[172:173]
	v_add_f64 v[94:95], v[94:95], v[64:65]
	v_fma_f64 v[64:65], v[230:231], s[22:23], -v[90:91]
	v_mul_f64 v[190:191], v[218:219], s[24:25]
	v_accvgpr_write_b32 a86, v198
	v_add_f64 v[80:81], v[0:1], v[80:81]
	v_add_f64 v[96:97], v[64:65], v[70:71]
	v_fma_f64 v[64:65], s[16:17], v[88:89], v[190:191]
	v_fma_f64 v[70:71], v[204:205], s[12:13], -v[176:177]
	v_mul_f64 v[202:203], v[194:195], s[24:25]
	v_accvgpr_write_b32 a87, v199
	v_accvgpr_write_b32 a88, v200
	;; [unrolled: 1-line block ×4, first 2 shown]
	v_add_f64 v[64:65], v[64:65], v[80:81]
	v_add_f64 v[70:71], v[2:3], v[70:71]
	v_fma_f64 v[80:81], v[224:225], s[16:17], -v[202:203]
	v_mul_f64 v[198:199], v[236:237], s[34:35]
	v_accvgpr_write_b32 a95, v207
	v_accvgpr_write_b32 a96, v208
	;; [unrolled: 1-line block ×3, first 2 shown]
	v_add_f64 v[70:71], v[80:81], v[70:71]
	v_fma_f64 v[80:81], s[22:23], v[196:197], v[198:199]
	v_mul_f64 v[208:209], v[214:215], s[34:35]
	v_add_f64 v[64:65], v[80:81], v[64:65]
	v_fma_f64 v[80:81], v[250:251], s[22:23], -v[208:209]
	v_mul_f64 v[200:201], v[254:255], s[36:37]
	v_add_f64 v[70:71], v[80:81], v[70:71]
	v_fma_f64 v[80:81], s[14:15], v[212:213], v[200:201]
	v_mul_f64 v[210:211], v[238:239], s[36:37]
	v_add_f64 v[64:65], v[80:81], v[64:65]
	v_fma_f64 v[80:81], v[226:227], s[14:15], -v[210:211]
	v_mul_f64 v[206:207], v[106:107], s[30:31]
	v_accvgpr_write_b32 a139, v97
	v_add_f64 v[70:71], v[80:81], v[70:71]
	v_fma_f64 v[80:81], s[0:1], v[228:229], v[206:207]
	v_mul_f64 v[216:217], v[92:93], s[30:31]
	v_accvgpr_write_b32 a138, v96
	v_accvgpr_write_b32 a137, v95
	;; [unrolled: 1-line block ×3, first 2 shown]
	v_add_f64 v[94:95], v[80:81], v[64:65]
	v_fma_f64 v[64:65], v[230:231], s[0:1], -v[216:217]
	v_mul_f64 v[220:221], v[192:193], s[20:21]
	v_add_f64 v[96:97], v[64:65], v[70:71]
	v_fma_f64 v[64:65], s[14:15], v[186:187], v[220:221]
	v_mul_f64 v[222:223], v[218:219], s[34:35]
	v_accvgpr_write_b32 a132, v242
	v_add_f64 v[64:65], v[0:1], v[64:65]
	v_fma_f64 v[70:71], s[22:23], v[88:89], v[222:223]
	v_mul_f64 v[234:235], v[86:87], s[20:21]
	v_accvgpr_write_b32 a133, v243
	v_accvgpr_write_b32 a134, v244
	;; [unrolled: 1-line block ×3, first 2 shown]
	v_add_f64 v[64:65], v[70:71], v[64:65]
	v_fma_f64 v[70:71], v[204:205], s[14:15], -v[234:235]
	v_mul_f64 v[242:243], v[194:195], s[34:35]
	v_add_f64 v[70:71], v[2:3], v[70:71]
	v_fma_f64 v[80:81], v[224:225], s[22:23], -v[242:243]
	v_mul_f64 v[232:233], v[236:237], s[38:39]
	v_add_f64 v[70:71], v[80:81], v[70:71]
	v_fma_f64 v[80:81], s[12:13], v[196:197], v[232:233]
	v_mul_f64 v[246:247], v[214:215], s[38:39]
	v_add_f64 v[64:65], v[80:81], v[64:65]
	v_fma_f64 v[80:81], v[250:251], s[12:13], -v[246:247]
	v_mul_f64 v[240:241], v[254:255], s[18:19]
	v_add_f64 v[70:71], v[80:81], v[70:71]
	v_fma_f64 v[80:81], s[0:1], v[212:213], v[240:241]
	v_mul_f64 v[248:249], v[238:239], s[18:19]
	v_add_f64 v[64:65], v[80:81], v[64:65]
	v_fma_f64 v[80:81], v[226:227], s[0:1], -v[248:249]
	v_mul_f64 v[244:245], v[106:107], s[24:25]
	v_accvgpr_write_b32 a143, v97
	v_add_f64 v[70:71], v[80:81], v[70:71]
	v_fma_f64 v[80:81], s[16:17], v[228:229], v[244:245]
	v_mul_f64 v[252:253], v[92:93], s[24:25]
	v_accvgpr_write_b32 a142, v96
	v_accvgpr_write_b32 a141, v95
	;; [unrolled: 1-line block ×3, first 2 shown]
	v_add_f64 v[94:95], v[80:81], v[64:65]
	v_fma_f64 v[64:65], v[230:231], s[16:17], -v[252:253]
	v_add_f64 v[96:97], v[64:65], v[70:71]
	v_accvgpr_write_b32 a147, v97
	v_accvgpr_write_b32 a146, v96
	;; [unrolled: 1-line block ×4, first 2 shown]
	v_mul_f64 v[94:95], v[192:193], s[24:25]
	v_fma_f64 v[64:65], s[16:17], v[186:187], v[94:95]
	v_mul_f64 v[96:97], v[218:219], s[36:37]
	v_add_f64 v[64:65], v[0:1], v[64:65]
	v_fma_f64 v[70:71], s[14:15], v[88:89], v[96:97]
	v_mul_f64 v[100:101], v[86:87], s[24:25]
	v_add_f64 v[64:65], v[70:71], v[64:65]
	v_fma_f64 v[70:71], v[204:205], s[16:17], -v[100:101]
	v_mul_f64 v[104:105], v[194:195], s[36:37]
	v_add_f64 v[70:71], v[2:3], v[70:71]
	v_fma_f64 v[80:81], v[224:225], s[14:15], -v[104:105]
	v_mul_f64 v[98:99], v[236:237], s[18:19]
	v_add_f64 v[70:71], v[80:81], v[70:71]
	v_fma_f64 v[80:81], s[0:1], v[196:197], v[98:99]
	v_mul_f64 v[110:111], v[214:215], s[18:19]
	v_add_f64 v[64:65], v[80:81], v[64:65]
	v_fma_f64 v[80:81], v[250:251], s[0:1], -v[110:111]
	v_mul_f64 v[102:103], v[254:255], s[28:29]
	v_add_f64 v[70:71], v[80:81], v[70:71]
	v_fma_f64 v[80:81], s[22:23], v[212:213], v[102:103]
	v_add_f64 v[80:81], v[80:81], v[64:65]
	v_mul_f64 v[64:65], v[238:239], s[28:29]
	v_fma_f64 v[108:109], v[226:227], s[22:23], -v[64:65]
	v_add_f64 v[70:71], v[108:109], v[70:71]
	v_mul_f64 v[108:109], v[106:107], s[38:39]
	v_accvgpr_write_b32 a78, v118
	v_fma_f64 v[112:113], s[12:13], v[228:229], v[108:109]
	v_accvgpr_write_b32 a79, v119
	v_accvgpr_write_b32 a80, v120
	;; [unrolled: 1-line block ×3, first 2 shown]
	v_add_f64 v[118:119], v[112:113], v[80:81]
	v_mul_f64 v[80:81], v[92:93], s[38:39]
	v_fma_f64 v[112:113], v[230:231], s[12:13], -v[80:81]
	v_add_f64 v[120:121], v[112:113], v[70:71]
	v_accvgpr_write_b32 a82, v122
	v_accvgpr_write_b32 a151, v121
	;; [unrolled: 1-line block ×8, first 2 shown]
	v_mov_b32_e32 v71, 0
	ds_write_b128 v82, v[8:11]
	ds_write_b128 v82, v[16:19] offset:96
	ds_write_b128 v82, v[24:27] offset:192
	;; [unrolled: 1-line block ×10, first 2 shown]
	s_mov_b64 s[40:41], exec
	s_and_b64 s[42:43], s[40:41], vcc
	v_accvgpr_write_b32 a43, v116
	s_mov_b64 exec, s[42:43]
	s_cbranch_execz .LBB0_5
; %bb.4:
	v_mul_f64 v[26:27], v[204:205], s[0:1]
	v_mul_f64 v[22:23], v[204:205], s[12:13]
	v_mul_f64 v[18:19], v[204:205], s[14:15]
	v_mul_f64 v[14:15], v[204:205], s[16:17]
	v_mul_f64 v[204:205], v[204:205], s[22:23]
	v_mul_f64 v[30:31], v[224:225], s[12:13]
	v_mul_f64 v[34:35], v[224:225], s[16:17]
	v_mul_f64 v[38:39], v[224:225], s[22:23]
	v_mul_f64 v[42:43], v[224:225], s[14:15]
	v_accvgpr_write_b32 a8, v114
	v_mul_f64 v[10:11], v[226:227], s[12:13]
	v_mul_f64 v[224:225], v[224:225], s[0:1]
	v_fma_f64 v[68:69], s[34:35], v[86:87], v[204:205]
	v_fmac_f64_e32 v[204:205], s[28:29], v[86:87]
	v_mul_f64 v[46:47], v[250:251], s[14:15]
	v_accvgpr_write_b32 a9, v115
	v_mul_f64 v[114:115], v[250:251], s[22:23]
	v_mul_f64 v[118:119], v[250:251], s[12:13]
	;; [unrolled: 1-line block ×3, first 2 shown]
	v_fma_f64 v[6:7], s[26:27], v[238:239], v[10:11]
	v_mov_b32_e32 v70, v126
	v_accvgpr_write_b32 a118, v127
	v_mul_f64 v[126:127], v[250:251], s[16:17]
	s_mov_b32 s27, 0x3fe82f19
	s_mov_b32 s26, s24
	v_fma_f64 v[250:251], s[18:19], v[194:195], v[224:225]
	v_add_f64 v[68:69], v[2:3], v[68:69]
	v_fmac_f64_e32 v[224:225], s[30:31], v[194:195]
	v_add_f64 v[204:205], v[2:3], v[204:205]
	v_add_f64 v[68:69], v[250:251], v[68:69]
	v_fma_f64 v[250:251], s[26:27], v[214:215], v[126:127]
	v_fmac_f64_e32 v[126:127], s[24:25], v[214:215]
	v_add_f64 v[204:205], v[224:225], v[204:205]
	v_mul_f64 v[8:9], v[230:231], s[14:15]
	v_add_f64 v[68:69], v[250:251], v[68:69]
	v_fmac_f64_e32 v[10:11], s[38:39], v[238:239]
	v_add_f64 v[126:127], v[126:127], v[204:205]
	v_fma_f64 v[4:5], s[36:37], v[92:93], v[8:9]
	v_add_f64 v[6:7], v[6:7], v[68:69]
	v_mul_f64 v[218:219], v[218:219], s[30:31]
	v_mul_f64 v[192:193], v[192:193], s[28:29]
	v_fmac_f64_e32 v[8:9], s[20:21], v[92:93]
	v_add_f64 v[10:11], v[10:11], v[126:127]
	v_mul_f64 v[28:29], v[88:89], s[12:13]
	v_mul_f64 v[32:33], v[88:89], s[16:17]
	;; [unrolled: 1-line block ×4, first 2 shown]
	v_add_f64 v[6:7], v[4:5], v[6:7]
	v_fma_f64 v[4:5], s[0:1], v[88:89], v[218:219]
	v_fma_f64 v[250:251], s[22:23], v[186:187], v[192:193]
	v_add_f64 v[10:11], v[8:9], v[10:11]
	v_fma_f64 v[8:9], v[88:89], s[0:1], -v[218:219]
	v_fma_f64 v[88:89], v[186:187], s[22:23], -v[192:193]
	v_mul_f64 v[236:237], v[236:237], s[24:25]
	v_add_f64 v[250:251], v[0:1], v[250:251]
	v_add_f64 v[88:89], v[0:1], v[88:89]
	v_mul_f64 v[44:45], v[196:197], s[14:15]
	v_mul_f64 v[112:113], v[196:197], s[22:23]
	;; [unrolled: 1-line block ×6, first 2 shown]
	v_add_f64 v[4:5], v[4:5], v[250:251]
	v_fma_f64 v[250:251], s[16:17], v[196:197], v[236:237]
	v_fma_f64 v[196:197], v[196:197], s[16:17], -v[236:237]
	v_add_f64 v[8:9], v[8:9], v[88:89]
	v_add_f64 v[4:5], v[250:251], v[4:5]
	v_fma_f64 v[250:251], s[12:13], v[212:213], v[106:107]
	v_fma_f64 v[106:107], v[212:213], s[12:13], -v[106:107]
	v_add_f64 v[8:9], v[196:197], v[8:9]
	v_add_f64 v[14:15], v[100:101], v[14:15]
	;; [unrolled: 1-line block ×3, first 2 shown]
	v_fma_f64 v[250:251], s[14:15], v[228:229], v[68:69]
	v_mul_f64 v[224:225], v[230:231], s[22:23]
	v_mul_f64 v[126:127], v[230:231], s[0:1]
	;; [unrolled: 1-line block ×3, first 2 shown]
	v_fma_f64 v[68:69], v[228:229], s[14:15], -v[68:69]
	v_mul_f64 v[230:231], v[230:231], s[12:13]
	v_add_f64 v[8:9], v[106:107], v[8:9]
	v_add_f64 v[42:43], v[104:105], v[42:43]
	;; [unrolled: 1-line block ×3, first 2 shown]
	v_mul_f64 v[12:13], v[186:187], s[16:17]
	v_add_f64 v[4:5], v[250:251], v[4:5]
	v_mul_f64 v[250:251], v[226:227], s[16:17]
	v_mul_f64 v[92:93], v[226:227], s[14:15]
	;; [unrolled: 1-line block ×4, first 2 shown]
	v_add_f64 v[8:9], v[68:69], v[8:9]
	v_add_f64 v[68:69], v[80:81], v[230:231]
	;; [unrolled: 1-line block ×6, first 2 shown]
	v_add_f64 v[12:13], v[12:13], -v[94:95]
	v_add_f64 v[14:15], v[64:65], v[14:15]
	v_add_f64 v[40:41], v[40:41], -v[96:97]
	v_add_f64 v[12:13], v[0:1], v[12:13]
	v_mul_f64 v[194:195], v[212:213], s[22:23]
	v_add_f64 v[14:15], v[68:69], v[14:15]
	v_add_f64 v[68:69], v[120:121], -v[98:99]
	v_add_f64 v[12:13], v[40:41], v[12:13]
	v_add_f64 v[18:19], v[234:235], v[18:19]
	v_mul_f64 v[16:17], v[186:187], s[14:15]
	v_mul_f64 v[124:125], v[212:213], s[16:17]
	v_mul_f64 v[254:255], v[212:213], s[14:15]
	v_mul_f64 v[238:239], v[212:213], s[0:1]
	v_mul_f64 v[86:87], v[228:229], s[22:23]
	v_mul_f64 v[204:205], v[228:229], s[0:1]
	v_mul_f64 v[212:213], v[228:229], s[16:17]
	v_mul_f64 v[228:229], v[228:229], s[12:13]
	v_add_f64 v[64:65], v[194:195], -v[102:103]
	v_add_f64 v[12:13], v[68:69], v[12:13]
	v_add_f64 v[38:39], v[242:243], v[38:39]
	;; [unrolled: 1-line block ×3, first 2 shown]
	v_add_f64 v[42:43], v[228:229], -v[108:109]
	v_add_f64 v[12:13], v[64:65], v[12:13]
	v_add_f64 v[64:65], v[246:247], v[118:119]
	;; [unrolled: 1-line block ×3, first 2 shown]
	v_add_f64 v[16:17], v[16:17], -v[220:221]
	v_mul_f64 v[24:25], v[186:187], s[0:1]
	v_mul_f64 v[20:21], v[186:187], s[12:13]
	v_add_f64 v[12:13], v[42:43], v[12:13]
	v_add_f64 v[42:43], v[248:249], v[214:215]
	;; [unrolled: 1-line block ×3, first 2 shown]
	v_add_f64 v[36:37], v[36:37], -v[222:223]
	v_add_f64 v[16:17], v[0:1], v[16:17]
	v_add_f64 v[40:41], v[252:253], v[236:237]
	;; [unrolled: 1-line block ×3, first 2 shown]
	v_add_f64 v[42:43], v[116:117], -v[232:233]
	v_add_f64 v[16:17], v[36:37], v[16:17]
	v_add_f64 v[22:23], v[176:177], v[22:23]
	v_add_f64 v[20:21], v[20:21], -v[172:173]
	v_add_f64 v[26:27], v[170:171], v[26:27]
	v_add_f64 v[24:25], v[24:25], -v[168:169]
	;; [unrolled: 2-line block ×3, first 2 shown]
	v_add_f64 v[16:17], v[42:43], v[16:17]
	v_add_f64 v[34:35], v[202:203], v[34:35]
	;; [unrolled: 1-line block ×8, first 2 shown]
	v_add_f64 v[38:39], v[212:213], -v[244:245]
	v_add_f64 v[16:17], v[40:41], v[16:17]
	v_add_f64 v[40:41], v[208:209], v[114:115]
	;; [unrolled: 1-line block ×8, first 2 shown]
	v_add_f64 v[32:33], v[32:33], -v[190:191]
	v_add_f64 v[2:3], v[2:3], v[62:63]
	v_add_f64 v[0:1], v[0:1], v[52:53]
	v_add_f64 v[36:37], v[216:217], v[126:127]
	v_add_f64 v[22:23], v[38:39], v[22:23]
	v_add_f64 v[38:39], v[112:113], -v[198:199]
	v_add_f64 v[20:21], v[32:33], v[20:21]
	v_add_f64 v[2:3], v[2:3], v[66:67]
	v_add_f64 v[0:1], v[0:1], v[54:55]
	v_add_f64 v[22:23], v[36:37], v[22:23]
	;; [unrolled: 5-line block ×3, first 2 shown]
	v_add_f64 v[34:35], v[204:205], -v[206:207]
	v_add_f64 v[20:21], v[36:37], v[20:21]
	v_add_f64 v[36:37], v[182:183], v[46:47]
	;; [unrolled: 1-line block ×3, first 2 shown]
	v_add_f64 v[28:29], v[28:29], -v[174:175]
	v_add_f64 v[2:3], v[2:3], v[154:155]
	v_add_f64 v[0:1], v[0:1], v[74:75]
	;; [unrolled: 1-line block ×8, first 2 shown]
	v_accvgpr_read_b32 v28, a76
	v_add_f64 v[32:33], v[90:91], v[224:225]
	v_add_f64 v[26:27], v[34:35], v[26:27]
	v_add_f64 v[34:35], v[44:45], -v[180:181]
	v_add_f64 v[2:3], v[2:3], v[158:159]
	v_add_f64 v[0:1], v[0:1], v[78:79]
	v_mul_u32_u24_e32 v28, 0x42, v28
	v_accvgpr_read_b32 v29, a77
	v_accvgpr_read_b32 v116, a43
	;; [unrolled: 1-line block ×3, first 2 shown]
	v_add_f64 v[26:27], v[32:33], v[26:27]
	v_add_f64 v[32:33], v[124:125], -v[184:185]
	v_add_f64 v[24:25], v[34:35], v[24:25]
	v_add_f64 v[2:3], v[2:3], v[164:165]
	;; [unrolled: 1-line block ×3, first 2 shown]
	v_add_u32_sdwa v28, v28, v29 dst_sel:DWORD dst_unused:UNUSED_PAD src0_sel:DWORD src1_sel:BYTE_0
	v_accvgpr_read_b32 v127, a118
	v_mov_b32_e32 v126, v70
	v_accvgpr_read_b32 v114, a8
	v_add_f64 v[30:31], v[86:87], -v[84:85]
	v_add_f64 v[24:25], v[32:33], v[24:25]
	v_add_f64 v[2:3], v[2:3], v[166:167]
	;; [unrolled: 1-line block ×3, first 2 shown]
	v_lshl_add_u32 v28, v28, 4, v116
	v_add_f64 v[24:25], v[30:31], v[24:25]
	ds_write_b128 v28, v[0:3]
	ds_write_b128 v28, v[24:27] offset:96
	ds_write_b128 v28, v[20:23] offset:192
	;; [unrolled: 1-line block ×10, first 2 shown]
.LBB0_5:
	s_or_b64 exec, exec, s[40:41]
	v_lshlrev_b32_e32 v70, 4, v114
	v_lshl_add_u32 v90, v57, 4, v56
	s_waitcnt lgkmcnt(0)
	s_barrier
	ds_read_b128 v[32:35], v83
	ds_read_b128 v[78:81], v83 offset:9504
	ds_read_b128 v[28:31], v83 offset:1056
	;; [unrolled: 1-line block ×17, first 2 shown]
	global_load_dwordx4 v[160:163], v70, s[10:11] offset:960
	s_mov_b64 s[0:1], 0xc6
	v_lshl_add_u64 v[76:77], v[114:115], 0, s[0:1]
	s_mov_b64 s[0:1], 0x108
	v_lshl_add_u64 v[74:75], v[114:115], 0, s[0:1]
	;; [unrolled: 2-line block ×3, first 2 shown]
	s_movk_i32 s0, 0xf9
	v_accvgpr_read_b32 v104, a152
	v_lshl_add_u64 v[66:67], s[8:9], 0, v[70:71]
	v_add_u32_e32 v68, 0x18c, v114
	v_add_u32_e32 v69, 0x1ce, v114
	v_add_u32_e32 v73, 0x210, v114
	s_mov_b32 s8, 0xe8584caa
	s_mov_b32 s9, 0x3febb67a
	;; [unrolled: 1-line block ×4, first 2 shown]
	s_mov_b64 s[14:15], 0x1860
	s_movk_i32 s16, 0x1000
	v_accvgpr_write_b32 a8, v114
	s_waitcnt vmcnt(0) lgkmcnt(14)
	v_mul_f64 v[64:65], v[80:81], v[162:163]
	v_fma_f64 v[156:157], v[78:79], v[160:161], -v[64:65]
	v_mul_f64 v[64:65], v[86:87], v[162:163]
	v_fma_f64 v[152:153], v[84:85], v[160:161], -v[64:65]
	v_mul_lo_u16_sdwa v64, v104, s0 dst_sel:DWORD dst_unused:UNUSED_PAD src0_sel:BYTE_0 src1_sel:DWORD
	v_lshrrev_b16_e32 v64, 14, v64
	v_mul_lo_u16_e32 v64, 0x42, v64
	v_sub_u16_e32 v64, v104, v64
	v_mov_b32_e32 v65, 4
	v_lshlrev_b32_sdwa v70, v65, v64 dst_sel:DWORD dst_unused:UNUSED_PAD src0_sel:DWORD src1_sel:BYTE_0
	global_load_dwordx4 v[168:171], v70, s[10:11] offset:960
	v_mul_f64 v[154:155], v[78:79], v[162:163]
	v_mul_f64 v[78:79], v[84:85], v[162:163]
	s_mov_b32 s0, 0xf83f
	v_fmac_f64_e32 v[154:155], v[80:81], v[160:161]
	v_fmac_f64_e32 v[78:79], v[86:87], v[160:161]
	v_add_f64 v[86:87], v[28:29], -v[152:153]
	v_add_f64 v[88:89], v[30:31], -v[78:79]
	v_fma_f64 v[28:29], v[28:29], 2.0, -v[86:87]
	v_fma_f64 v[30:31], v[30:31], 2.0, -v[88:89]
	s_waitcnt vmcnt(0) lgkmcnt(12)
	v_mul_f64 v[64:65], v[62:63], v[170:171]
	v_fma_f64 v[84:85], v[60:61], v[168:169], -v[64:65]
	v_mul_f64 v[60:61], v[60:61], v[170:171]
	v_fmac_f64_e32 v[60:61], v[62:63], v[168:169]
	v_mul_u32_u24_sdwa v62, v76, s0 dst_sel:DWORD dst_unused:UNUSED_PAD src0_sel:WORD_0 src1_sel:DWORD
	v_lshrrev_b32_e32 v62, 22, v62
	v_mul_lo_u16_e32 v62, 0x42, v62
	v_sub_u16_e32 v62, v76, v62
	v_lshlrev_b32_e32 v75, 4, v62
	global_load_dwordx4 v[176:179], v75, s[10:11] offset:960
	v_mul_u32_u24_sdwa v65, v74, s0 dst_sel:DWORD dst_unused:UNUSED_PAD src0_sel:WORD_0 src1_sel:DWORD
	v_mul_u32_u24_sdwa v64, v72, s0 dst_sel:DWORD dst_unused:UNUSED_PAD src0_sel:WORD_0 src1_sel:DWORD
	v_add_f64 v[78:79], v[24:25], -v[84:85]
	v_add_f64 v[80:81], v[26:27], -v[60:61]
	v_fma_f64 v[24:25], v[24:25], 2.0, -v[78:79]
	v_fma_f64 v[26:27], v[26:27], 2.0, -v[80:81]
	s_waitcnt vmcnt(0) lgkmcnt(10)
	v_mul_f64 v[62:63], v[58:59], v[178:179]
	v_fma_f64 v[62:63], v[56:57], v[176:177], -v[62:63]
	v_mul_f64 v[56:57], v[56:57], v[178:179]
	v_fmac_f64_e32 v[56:57], v[58:59], v[176:177]
	v_lshrrev_b32_e32 v58, 22, v65
	v_mul_lo_u16_e32 v58, 0x42, v58
	v_sub_u16_e32 v58, v74, v58
	v_lshlrev_b32_e32 v77, 4, v58
	global_load_dwordx4 v[180:183], v77, s[10:11] offset:960
	v_add_f64 v[60:61], v[20:21], -v[62:63]
	v_add_f64 v[62:63], v[22:23], -v[56:57]
	v_fma_f64 v[20:21], v[20:21], 2.0, -v[60:61]
	v_fma_f64 v[22:23], v[22:23], 2.0, -v[62:63]
	s_waitcnt vmcnt(0) lgkmcnt(8)
	v_mul_f64 v[58:59], v[54:55], v[182:183]
	v_fma_f64 v[58:59], v[52:53], v[180:181], -v[58:59]
	v_mul_f64 v[52:53], v[52:53], v[182:183]
	v_fmac_f64_e32 v[52:53], v[54:55], v[180:181]
	v_lshrrev_b32_e32 v54, 22, v64
	v_mul_lo_u16_e32 v54, 0x42, v54
	v_sub_u16_e32 v54, v72, v54
	v_lshlrev_b32_e32 v91, 4, v54
	global_load_dwordx4 v[184:187], v91, s[10:11] offset:960
	v_add_f64 v[56:57], v[16:17], -v[58:59]
	v_add_f64 v[58:59], v[18:19], -v[52:53]
	v_fma_f64 v[16:17], v[16:17], 2.0, -v[56:57]
	v_fma_f64 v[18:19], v[18:19], 2.0, -v[58:59]
	s_waitcnt vmcnt(0) lgkmcnt(6)
	v_mul_f64 v[54:55], v[50:51], v[186:187]
	v_fma_f64 v[54:55], v[48:49], v[184:185], -v[54:55]
	v_mul_f64 v[48:49], v[48:49], v[186:187]
	v_fmac_f64_e32 v[48:49], v[50:51], v[184:185]
	v_mul_u32_u24_sdwa v50, v68, s0 dst_sel:DWORD dst_unused:UNUSED_PAD src0_sel:WORD_0 src1_sel:DWORD
	v_lshrrev_b32_e32 v50, 22, v50
	v_mul_lo_u16_e32 v50, 0x42, v50
	v_sub_u16_e32 v50, v68, v50
	v_lshlrev_b32_e32 v96, 4, v50
	global_load_dwordx4 v[188:191], v96, s[10:11] offset:960
	v_add_f64 v[52:53], v[12:13], -v[54:55]
	v_add_f64 v[54:55], v[14:15], -v[48:49]
	v_fma_f64 v[12:13], v[12:13], 2.0, -v[52:53]
	v_fma_f64 v[14:15], v[14:15], 2.0, -v[54:55]
	s_waitcnt vmcnt(0) lgkmcnt(4)
	v_mul_f64 v[50:51], v[46:47], v[190:191]
	v_fma_f64 v[50:51], v[44:45], v[188:189], -v[50:51]
	v_mul_f64 v[44:45], v[44:45], v[190:191]
	v_fmac_f64_e32 v[44:45], v[46:47], v[188:189]
	v_mul_u32_u24_sdwa v46, v69, s0 dst_sel:DWORD dst_unused:UNUSED_PAD src0_sel:WORD_0 src1_sel:DWORD
	v_lshrrev_b32_e32 v46, 22, v46
	v_mul_lo_u16_e32 v46, 0x42, v46
	v_sub_u16_e32 v46, v69, v46
	v_lshlrev_b32_e32 v97, 4, v46
	global_load_dwordx4 v[192:195], v97, s[10:11] offset:960
	v_add_f64 v[44:45], v[10:11], -v[44:45]
	v_fma_f64 v[10:11], v[10:11], 2.0, -v[44:45]
	s_waitcnt vmcnt(0) lgkmcnt(2)
	v_mul_f64 v[46:47], v[42:43], v[194:195]
	v_fma_f64 v[46:47], v[40:41], v[192:193], -v[46:47]
	v_mul_f64 v[40:41], v[40:41], v[194:195]
	v_fmac_f64_e32 v[40:41], v[42:43], v[192:193]
	v_mul_u32_u24_sdwa v42, v73, s0 dst_sel:DWORD dst_unused:UNUSED_PAD src0_sel:WORD_0 src1_sel:DWORD
	v_lshrrev_b32_e32 v42, 22, v42
	v_mul_lo_u16_e32 v42, 0x42, v42
	v_sub_u16_e32 v42, v73, v42
	v_lshlrev_b32_e32 v73, 4, v42
	global_load_dwordx4 v[196:199], v73, s[10:11] offset:960
	s_waitcnt lgkmcnt(0)
	s_barrier
	v_add_f64 v[46:47], v[4:5], -v[46:47]
	v_add_f64 v[48:49], v[6:7], -v[40:41]
	v_fma_f64 v[4:5], v[4:5], 2.0, -v[46:47]
	v_fma_f64 v[6:7], v[6:7], 2.0, -v[48:49]
	s_waitcnt vmcnt(0)
	v_mul_f64 v[42:43], v[38:39], v[198:199]
	v_mul_f64 v[94:95], v[36:37], v[198:199]
	v_fma_f64 v[68:69], v[36:37], v[196:197], -v[42:43]
	v_fmac_f64_e32 v[94:95], v[38:39], v[196:197]
	v_add_f64 v[36:37], v[32:33], -v[156:157]
	v_add_f64 v[38:39], v[34:35], -v[154:155]
	v_fma_f64 v[32:33], v[32:33], 2.0, -v[36:37]
	v_fma_f64 v[34:35], v[34:35], 2.0, -v[38:39]
	ds_write_b128 v83, v[32:35]
	ds_write_b128 v83, v[36:39] offset:1056
	ds_write_b128 v83, v[28:31] offset:2112
	;; [unrolled: 1-line block ×3, first 2 shown]
	v_add_u32_e32 v28, v116, v70
	ds_write_b128 v28, v[24:27] offset:4224
	v_add_u32_e32 v24, v116, v75
	ds_write_b128 v24, v[20:23] offset:6336
	v_add_u32_e32 v20, v116, v77
	v_add_f64 v[42:43], v[8:9], -v[50:51]
	ds_write_b128 v20, v[16:19] offset:8448
	v_add_u32_e32 v16, v116, v91
	v_fma_f64 v[8:9], v[8:9], 2.0, -v[42:43]
	ds_write_b128 v16, v[12:15] offset:10560
	v_add_u32_e32 v12, v116, v96
	v_add_f64 v[92:93], v[0:1], -v[68:69]
	v_add_f64 v[94:95], v[2:3], -v[94:95]
	ds_write_b128 v12, v[8:11] offset:12672
	v_add_u32_e32 v8, v116, v97
	v_fma_f64 v[0:1], v[0:1], 2.0, -v[92:93]
	v_fma_f64 v[2:3], v[2:3], 2.0, -v[94:95]
	ds_write_b128 v8, v[4:7] offset:14784
	v_add_u32_e32 v4, v116, v73
	v_lshlrev_b32_e32 v70, 5, v114
	v_accvgpr_write_b32 a9, v28
	ds_write_b128 v28, v[78:81] offset:5280
	v_accvgpr_write_b32 a118, v24
	ds_write_b128 v24, v[60:63] offset:7392
	;; [unrolled: 2-line block ×6, first 2 shown]
	ds_write_b128 v4, v[0:3] offset:16896
	v_accvgpr_write_b32 a156, v4
	ds_write_b128 v4, v[92:95] offset:17952
	s_waitcnt lgkmcnt(0)
	s_barrier
	ds_read_b128 v[20:23], v83
	ds_read_b128 v[84:87], v83 offset:6336
	ds_read_b128 v[92:95], v83 offset:12672
	;; [unrolled: 1-line block ×17, first 2 shown]
	global_load_dwordx4 v[200:203], v70, s[10:11] offset:2032
	global_load_dwordx4 v[204:207], v70, s[10:11] offset:2016
	v_lshl_add_u64 v[78:79], s[10:11], 0, v[70:71]
	s_waitcnt vmcnt(1) lgkmcnt(14)
	v_mul_f64 v[158:159], v[92:93], v[202:203]
	s_waitcnt vmcnt(0)
	v_mul_f64 v[68:69], v[86:87], v[206:207]
	v_fma_f64 v[152:153], v[84:85], v[204:205], -v[68:69]
	v_mul_f64 v[68:69], v[94:95], v[202:203]
	v_fma_f64 v[156:157], v[92:93], v[200:201], -v[68:69]
	v_accvgpr_read_b32 v68, a158
	v_lshlrev_b32_e32 v70, 5, v68
	global_load_dwordx4 v[208:211], v70, s[10:11] offset:2032
	global_load_dwordx4 v[212:215], v70, s[10:11] offset:2016
	v_lshl_add_u64 v[68:69], s[10:11], 0, v[70:71]
	v_mul_f64 v[154:155], v[84:85], v[206:207]
	v_fmac_f64_e32 v[154:155], v[86:87], v[204:205]
	v_fmac_f64_e32 v[158:159], v[94:95], v[200:201]
	s_waitcnt vmcnt(1) lgkmcnt(12)
	v_mul_f64 v[166:167], v[56:57], v[210:211]
	s_waitcnt vmcnt(0)
	v_mul_f64 v[80:81], v[62:63], v[214:215]
	v_fma_f64 v[164:165], v[60:61], v[212:213], -v[80:81]
	v_mul_f64 v[60:61], v[60:61], v[214:215]
	v_fmac_f64_e32 v[60:61], v[62:63], v[212:213]
	v_mul_f64 v[62:63], v[58:59], v[210:211]
	v_fma_f64 v[62:63], v[56:57], v[208:209], -v[62:63]
	s_waitcnt lgkmcnt(10)
	v_mul_f64 v[56:57], v[54:55], v[206:207]
	v_fma_f64 v[56:57], v[52:53], v[204:205], -v[56:57]
	v_mul_f64 v[52:53], v[52:53], v[206:207]
	v_fmac_f64_e32 v[52:53], v[54:55], v[204:205]
	s_waitcnt lgkmcnt(9)
	v_mul_f64 v[54:55], v[50:51], v[202:203]
	v_fmac_f64_e32 v[166:167], v[58:59], v[208:209]
	v_fma_f64 v[54:55], v[48:49], v[200:201], -v[54:55]
	v_mul_f64 v[58:59], v[48:49], v[202:203]
	s_waitcnt lgkmcnt(7)
	v_mul_f64 v[48:49], v[46:47], v[214:215]
	v_fma_f64 v[48:49], v[44:45], v[212:213], -v[48:49]
	v_mul_f64 v[44:45], v[44:45], v[214:215]
	v_fmac_f64_e32 v[44:45], v[46:47], v[212:213]
	s_waitcnt lgkmcnt(6)
	v_mul_f64 v[46:47], v[42:43], v[210:211]
	v_fma_f64 v[46:47], v[40:41], v[208:209], -v[46:47]
	v_mul_f64 v[40:41], v[40:41], v[210:211]
	v_fmac_f64_e32 v[40:41], v[42:43], v[208:209]
	v_lshrrev_b32_e32 v42, 23, v65
	v_mul_lo_u16_e32 v42, 0x84, v42
	v_fmac_f64_e32 v[58:59], v[50:51], v[200:201]
	v_sub_u16_e32 v50, v74, v42
	v_lshlrev_b16_e32 v70, 5, v50
	v_lshl_add_u64 v[42:43], s[10:11], 0, v[70:71]
	global_load_dwordx4 v[216:219], v[42:43], off offset:2032
	global_load_dwordx4 v[220:223], v[42:43], off offset:2016
	s_waitcnt vmcnt(0) lgkmcnt(4)
	v_mul_f64 v[42:43], v[38:39], v[222:223]
	v_fma_f64 v[42:43], v[36:37], v[220:221], -v[42:43]
	v_mul_f64 v[36:37], v[36:37], v[222:223]
	v_fmac_f64_e32 v[36:37], v[38:39], v[220:221]
	s_waitcnt lgkmcnt(3)
	v_mul_f64 v[38:39], v[34:35], v[218:219]
	v_fma_f64 v[38:39], v[32:33], v[216:217], -v[38:39]
	v_mul_f64 v[32:33], v[32:33], v[218:219]
	v_fmac_f64_e32 v[32:33], v[34:35], v[216:217]
	v_lshrrev_b32_e32 v34, 23, v64
	v_mul_lo_u16_e32 v34, 0x84, v34
	v_sub_u16_e32 v51, v72, v34
	v_lshlrev_b16_e32 v70, 5, v51
	v_lshl_add_u64 v[34:35], s[10:11], 0, v[70:71]
	global_load_dwordx4 v[224:227], v[34:35], off offset:2032
	global_load_dwordx4 v[228:231], v[34:35], off offset:2016
	s_waitcnt lgkmcnt(0)
	s_barrier
	v_lshlrev_b32_e32 v70, 5, v104
	s_waitcnt vmcnt(1)
	v_mul_f64 v[102:103], v[24:25], v[226:227]
	s_waitcnt vmcnt(0)
	v_mul_f64 v[34:35], v[30:31], v[230:231]
	v_fma_f64 v[64:65], v[28:29], v[228:229], -v[34:35]
	v_mul_f64 v[80:81], v[28:29], v[230:231]
	v_mul_f64 v[28:29], v[26:27], v[226:227]
	v_fmac_f64_e32 v[102:103], v[26:27], v[224:225]
	v_add_f64 v[26:27], v[152:153], v[156:157]
	v_fmac_f64_e32 v[80:81], v[30:31], v[228:229]
	v_fma_f64 v[88:89], v[24:25], v[224:225], -v[28:29]
	v_add_f64 v[24:25], v[20:21], v[152:153]
	v_fmac_f64_e32 v[20:21], -0.5, v[26:27]
	v_add_f64 v[26:27], v[154:155], -v[158:159]
	v_add_f64 v[30:31], v[154:155], v[158:159]
	v_fma_f64 v[28:29], s[8:9], v[26:27], v[20:21]
	v_fmac_f64_e32 v[20:21], s[12:13], v[26:27]
	v_add_f64 v[26:27], v[22:23], v[154:155]
	v_fmac_f64_e32 v[22:23], -0.5, v[30:31]
	v_add_f64 v[34:35], v[152:153], -v[156:157]
	v_fma_f64 v[30:31], s[12:13], v[34:35], v[22:23]
	v_fmac_f64_e32 v[22:23], s[8:9], v[34:35]
	v_add_f64 v[34:35], v[16:17], v[164:165]
	v_add_f64 v[84:85], v[34:35], v[62:63]
	v_add_f64 v[34:35], v[164:165], v[62:63]
	v_fmac_f64_e32 v[16:17], -0.5, v[34:35]
	v_add_f64 v[34:35], v[60:61], -v[166:167]
	v_fma_f64 v[92:93], s[8:9], v[34:35], v[16:17]
	v_fmac_f64_e32 v[16:17], s[12:13], v[34:35]
	v_add_f64 v[34:35], v[18:19], v[60:61]
	v_add_f64 v[86:87], v[34:35], v[166:167]
	;; [unrolled: 7-line block ×10, first 2 shown]
	v_add_f64 v[32:33], v[80:81], v[102:103]
	v_fmac_f64_e32 v[2:3], -0.5, v[32:33]
	v_add_f64 v[32:33], v[64:65], -v[88:89]
	v_lshl_add_u64 v[64:65], v[78:79], 0, s[14:15]
	v_add_co_u32_e64 v78, s[0:1], s16, v78
	v_add_f64 v[24:25], v[24:25], v[156:157]
	v_add_f64 v[26:27], v[26:27], v[158:159]
	v_fma_f64 v[102:103], s[12:13], v[32:33], v[2:3]
	v_fmac_f64_e32 v[2:3], s[8:9], v[32:33]
	v_lshl_add_u32 v81, v50, 4, v116
	v_lshl_add_u32 v80, v51, 4, v116
	v_addc_co_u32_e64 v79, s[0:1], 0, v79, s[0:1]
	ds_write_b128 v83, v[24:27]
	ds_write_b128 v83, v[28:31] offset:2112
	ds_write_b128 v83, v[20:23] offset:4224
	;; [unrolled: 1-line block ×17, first 2 shown]
	s_waitcnt lgkmcnt(0)
	s_barrier
	ds_read_b128 v[44:47], v83
	ds_read_b128 v[84:87], v83 offset:6336
	ds_read_b128 v[92:95], v83 offset:12672
	;; [unrolled: 1-line block ×17, first 2 shown]
	global_load_dwordx4 v[232:235], v[78:79], off offset:2144
	global_load_dwordx4 v[236:239], v[64:65], off offset:16
	s_waitcnt vmcnt(1) lgkmcnt(14)
	v_mul_f64 v[64:65], v[86:87], v[234:235]
	v_fma_f64 v[78:79], v[84:85], v[232:233], -v[64:65]
	s_waitcnt vmcnt(0)
	v_mul_f64 v[64:65], v[94:95], v[238:239]
	v_fma_f64 v[154:155], v[92:93], v[236:237], -v[64:65]
	v_lshl_add_u64 v[64:65], v[68:69], 0, s[14:15]
	v_add_co_u32_e64 v68, s[0:1], s16, v68
	v_mul_f64 v[152:153], v[84:85], v[234:235]
	s_nop 0
	v_addc_co_u32_e64 v69, s[0:1], 0, v69, s[0:1]
	global_load_dwordx4 v[240:243], v[68:69], off offset:2144
	global_load_dwordx4 v[244:247], v[64:65], off offset:16
	v_fmac_f64_e32 v[152:153], v[86:87], v[232:233]
	v_mul_f64 v[156:157], v[92:93], v[238:239]
	v_fmac_f64_e32 v[156:157], v[94:95], v[236:237]
	s_waitcnt vmcnt(1) lgkmcnt(13)
	v_mul_f64 v[64:65], v[62:63], v[242:243]
	v_fma_f64 v[68:69], v[60:61], v[240:241], -v[64:65]
	v_mul_f64 v[60:61], v[60:61], v[242:243]
	v_fmac_f64_e32 v[60:61], v[62:63], v[240:241]
	s_waitcnt vmcnt(0) lgkmcnt(12)
	v_mul_f64 v[62:63], v[58:59], v[246:247]
	v_fma_f64 v[62:63], v[56:57], v[244:245], -v[62:63]
	v_mul_f64 v[56:57], v[56:57], v[246:247]
	v_fmac_f64_e32 v[56:57], v[58:59], v[244:245]
	v_lshl_add_u64 v[58:59], s[10:11], 0, v[70:71]
	v_lshl_add_u64 v[64:65], v[58:59], 0, s[14:15]
	v_add_co_u32_e64 v58, s[0:1], s16, v58
	v_lshlrev_b32_e32 v70, 5, v76
	s_nop 0
	v_addc_co_u32_e64 v59, s[0:1], 0, v59, s[0:1]
	global_load_dwordx4 v[248:251], v[58:59], off offset:2144
	global_load_dwordx4 v[252:255], v[64:65], off offset:16
	s_waitcnt vmcnt(1) lgkmcnt(10)
	v_mul_f64 v[58:59], v[6:7], v[250:251]
	v_fma_f64 v[58:59], v[4:5], v[248:249], -v[58:59]
	v_mul_f64 v[64:65], v[4:5], v[250:251]
	s_waitcnt vmcnt(0) lgkmcnt(9)
	v_mul_f64 v[4:5], v[2:3], v[254:255]
	v_fma_f64 v[158:159], v[0:1], v[252:253], -v[4:5]
	v_mul_f64 v[164:165], v[0:1], v[254:255]
	v_lshl_add_u64 v[0:1], s[10:11], 0, v[70:71]
	v_lshl_add_u64 v[4:5], v[0:1], 0, s[14:15]
	v_add_co_u32_e64 v0, s[0:1], s16, v0
	v_fmac_f64_e32 v[64:65], v[6:7], v[248:249]
	s_nop 0
	v_addc_co_u32_e64 v1, s[0:1], 0, v1, s[0:1]
	v_fmac_f64_e32 v[164:165], v[2:3], v[252:253]
	global_load_dwordx4 v[0:3], v[0:1], off offset:2144
	s_nop 0
	global_load_dwordx4 v[4:7], v[4:5], off offset:16
	v_lshlrev_b32_e32 v70, 5, v74
	s_waitcnt vmcnt(1) lgkmcnt(7)
	v_mul_f64 v[76:77], v[14:15], v[2:3]
	v_fma_f64 v[76:77], v[12:13], v[0:1], -v[76:77]
	v_mul_f64 v[166:167], v[12:13], v[2:3]
	s_waitcnt vmcnt(0) lgkmcnt(6)
	v_mul_f64 v[12:13], v[10:11], v[6:7]
	v_fma_f64 v[172:173], v[8:9], v[4:5], -v[12:13]
	v_mul_f64 v[174:175], v[8:9], v[6:7]
	v_lshl_add_u64 v[8:9], s[10:11], 0, v[70:71]
	v_lshl_add_u64 v[12:13], v[8:9], 0, s[14:15]
	v_add_co_u32_e64 v8, s[0:1], s16, v8
	v_fmac_f64_e32 v[166:167], v[14:15], v[0:1]
	s_nop 0
	v_addc_co_u32_e64 v9, s[0:1], 0, v9, s[0:1]
	v_fmac_f64_e32 v[174:175], v[10:11], v[4:5]
	global_load_dwordx4 v[8:11], v[8:9], off offset:2144
	s_nop 0
	global_load_dwordx4 v[12:15], v[12:13], off offset:16
	v_lshlrev_b32_e32 v70, 5, v72
	v_add_f64 v[72:73], v[68:69], v[62:63]
	s_waitcnt vmcnt(1) lgkmcnt(4)
	v_mul_f64 v[74:75], v[22:23], v[10:11]
	v_fma_f64 v[74:75], v[20:21], v[8:9], -v[74:75]
	v_mul_f64 v[84:85], v[20:21], v[10:11]
	s_waitcnt vmcnt(0) lgkmcnt(3)
	v_mul_f64 v[20:21], v[18:19], v[14:15]
	v_fma_f64 v[86:87], v[16:17], v[12:13], -v[20:21]
	v_mul_f64 v[88:89], v[16:17], v[14:15]
	v_lshl_add_u64 v[16:17], s[10:11], 0, v[70:71]
	v_lshl_add_u64 v[20:21], v[16:17], 0, s[14:15]
	v_add_co_u32_e64 v16, s[0:1], s16, v16
	v_fmac_f64_e32 v[84:85], v[22:23], v[8:9]
	s_nop 0
	v_addc_co_u32_e64 v17, s[0:1], 0, v17, s[0:1]
	v_fmac_f64_e32 v[88:89], v[18:19], v[12:13]
	global_load_dwordx4 v[16:19], v[16:17], off offset:2144
	s_nop 0
	global_load_dwordx4 v[20:23], v[20:21], off offset:16
	s_mov_b64 s[0:1], 0x4a40
	s_waitcnt vmcnt(1) lgkmcnt(1)
	v_mul_f64 v[70:71], v[54:55], v[18:19]
	s_waitcnt vmcnt(0) lgkmcnt(0)
	v_mul_f64 v[116:117], v[48:49], v[22:23]
	v_fma_f64 v[110:111], v[52:53], v[16:17], -v[70:71]
	v_mul_f64 v[112:113], v[52:53], v[18:19]
	v_mul_f64 v[52:53], v[50:51], v[22:23]
	v_fmac_f64_e32 v[116:117], v[50:51], v[20:21]
	v_add_f64 v[50:51], v[78:79], v[154:155]
	v_fmac_f64_e32 v[112:113], v[54:55], v[16:17]
	v_fma_f64 v[114:115], v[48:49], v[20:21], -v[52:53]
	v_add_f64 v[48:49], v[44:45], v[78:79]
	v_fmac_f64_e32 v[44:45], -0.5, v[50:51]
	v_add_f64 v[50:51], v[152:153], -v[156:157]
	v_add_f64 v[54:55], v[152:153], v[156:157]
	v_fma_f64 v[52:53], s[8:9], v[50:51], v[44:45]
	v_fmac_f64_e32 v[44:45], s[12:13], v[50:51]
	v_add_f64 v[50:51], v[46:47], v[152:153]
	v_fmac_f64_e32 v[46:47], -0.5, v[54:55]
	v_add_f64 v[70:71], v[78:79], -v[154:155]
	v_fma_f64 v[54:55], s[12:13], v[70:71], v[46:47]
	v_fmac_f64_e32 v[46:47], s[8:9], v[70:71]
	v_add_f64 v[70:71], v[40:41], v[68:69]
	v_fmac_f64_e32 v[40:41], -0.5, v[72:73]
	v_add_f64 v[72:73], v[60:61], -v[56:57]
	v_fma_f64 v[92:93], s[8:9], v[72:73], v[40:41]
	v_fmac_f64_e32 v[40:41], s[12:13], v[72:73]
	v_add_f64 v[72:73], v[42:43], v[60:61]
	v_add_f64 v[72:73], v[72:73], v[56:57]
	;; [unrolled: 1-line block ×3, first 2 shown]
	v_fmac_f64_e32 v[42:43], -0.5, v[56:57]
	v_add_f64 v[56:57], v[68:69], -v[62:63]
	v_fma_f64 v[94:95], s[12:13], v[56:57], v[42:43]
	v_fmac_f64_e32 v[42:43], s[8:9], v[56:57]
	v_add_f64 v[56:57], v[36:37], v[58:59]
	v_add_f64 v[60:61], v[56:57], v[158:159]
	;; [unrolled: 1-line block ×4, first 2 shown]
	v_fmac_f64_e32 v[36:37], -0.5, v[56:57]
	v_add_f64 v[62:63], v[64:65], -v[164:165]
	v_fma_f64 v[56:57], s[8:9], v[62:63], v[36:37]
	v_fmac_f64_e32 v[36:37], s[12:13], v[62:63]
	v_add_f64 v[62:63], v[38:39], v[64:65]
	v_add_f64 v[64:65], v[64:65], v[164:165]
	v_fmac_f64_e32 v[38:39], -0.5, v[64:65]
	v_add_f64 v[64:65], v[58:59], -v[158:159]
	v_fma_f64 v[58:59], s[12:13], v[64:65], v[38:39]
	v_fmac_f64_e32 v[38:39], s[8:9], v[64:65]
	v_add_f64 v[64:65], v[32:33], v[76:77]
	v_add_f64 v[96:97], v[64:65], v[172:173]
	v_add_f64 v[64:65], v[76:77], v[172:173]
	v_fmac_f64_e32 v[32:33], -0.5, v[64:65]
	v_add_f64 v[64:65], v[166:167], -v[174:175]
	v_fma_f64 v[100:101], s[8:9], v[64:65], v[32:33]
	v_fmac_f64_e32 v[32:33], s[12:13], v[64:65]
	v_add_f64 v[64:65], v[34:35], v[166:167]
	;; [unrolled: 7-line block ×6, first 2 shown]
	v_add_f64 v[86:87], v[64:65], v[116:117]
	v_add_f64 v[64:65], v[112:113], v[116:117]
	;; [unrolled: 1-line block ×4, first 2 shown]
	v_fmac_f64_e32 v[26:27], -0.5, v[64:65]
	v_add_f64 v[64:65], v[110:111], -v[114:115]
	v_add_f64 v[62:63], v[62:63], v[164:165]
	v_fma_f64 v[110:111], s[12:13], v[64:65], v[26:27]
	v_fmac_f64_e32 v[26:27], s[8:9], v[64:65]
	ds_write_b128 v83, v[48:51]
	ds_write_b128 v83, v[52:55] offset:6336
	ds_write_b128 v83, v[44:47] offset:12672
	;; [unrolled: 1-line block ×17, first 2 shown]
	v_lshl_add_u64 v[24:25], v[66:67], 0, s[0:1]
	s_movk_i32 s0, 0x4000
	v_add_co_u32_e64 v30, s[0:1], s0, v66
	s_waitcnt lgkmcnt(0)
	s_nop 0
	v_addc_co_u32_e64 v31, s[0:1], 0, v67, s[0:1]
	s_barrier
	global_load_dwordx4 v[30:33], v[30:31], off offset:2624
	ds_read_b128 v[26:29], v83
	s_movk_i32 s0, 0x6000
	s_waitcnt vmcnt(0) lgkmcnt(0)
	v_mul_f64 v[34:35], v[28:29], v[32:33]
	v_mul_f64 v[36:37], v[26:27], v[32:33]
	v_fma_f64 v[34:35], v[26:27], v[30:31], -v[34:35]
	v_fmac_f64_e32 v[36:37], v[28:29], v[30:31]
	global_load_dwordx4 v[30:33], v[24:25], off offset:3168
	ds_read_b128 v[26:29], v83 offset:3168
	ds_write_b128 v83, v[34:37]
	s_waitcnt vmcnt(0) lgkmcnt(1)
	v_mul_f64 v[34:35], v[28:29], v[32:33]
	v_fma_f64 v[34:35], v[26:27], v[30:31], -v[34:35]
	v_mul_f64 v[36:37], v[26:27], v[32:33]
	v_add_co_u32_e64 v26, s[0:1], s0, v66
	v_fmac_f64_e32 v[36:37], v[28:29], v[30:31]
	s_nop 0
	v_addc_co_u32_e64 v27, s[0:1], 0, v67, s[0:1]
	ds_write_b128 v83, v[34:37] offset:3168
	global_load_dwordx4 v[32:35], v[26:27], off offset:768
	ds_read_b128 v[28:31], v83 offset:6336
	s_movk_i32 s0, 0x7000
	s_waitcnt vmcnt(0) lgkmcnt(0)
	v_mul_f64 v[36:37], v[30:31], v[34:35]
	v_mul_f64 v[38:39], v[28:29], v[34:35]
	v_fma_f64 v[36:37], v[28:29], v[32:33], -v[36:37]
	v_fmac_f64_e32 v[38:39], v[30:31], v[32:33]
	global_load_dwordx4 v[32:35], v[26:27], off offset:3936
	ds_read_b128 v[28:31], v83 offset:9504
	ds_write_b128 v83, v[36:39] offset:6336
	s_waitcnt vmcnt(0) lgkmcnt(1)
	v_mul_f64 v[38:39], v[28:29], v[34:35]
	v_mul_f64 v[36:37], v[30:31], v[34:35]
	v_fmac_f64_e32 v[38:39], v[30:31], v[32:33]
	v_add_co_u32_e64 v30, s[0:1], s0, v66
	v_fma_f64 v[36:37], v[28:29], v[32:33], -v[36:37]
	s_nop 0
	v_addc_co_u32_e64 v31, s[0:1], 0, v67, s[0:1]
	ds_write_b128 v83, v[36:39] offset:9504
	global_load_dwordx4 v[36:39], v[30:31], off offset:3008
	ds_read_b128 v[32:35], v83 offset:12672
	s_mov_b32 s0, 0x8000
	s_waitcnt vmcnt(0) lgkmcnt(0)
	v_mul_f64 v[28:29], v[34:35], v[38:39]
	v_fma_f64 v[40:41], v[32:33], v[36:37], -v[28:29]
	v_add_co_u32_e64 v28, s[0:1], s0, v66
	v_mul_f64 v[42:43], v[32:33], v[38:39]
	s_nop 0
	v_addc_co_u32_e64 v29, s[0:1], 0, v67, s[0:1]
	v_fmac_f64_e32 v[42:43], v[34:35], v[36:37]
	global_load_dwordx4 v[36:39], v[28:29], off offset:2080
	ds_read_b128 v[32:35], v83 offset:15840
	ds_write_b128 v83, v[40:43] offset:12672
	s_movk_i32 s0, 0x5000
	s_waitcnt vmcnt(0) lgkmcnt(1)
	v_mul_f64 v[40:41], v[34:35], v[38:39]
	v_mul_f64 v[42:43], v[32:33], v[38:39]
	v_fma_f64 v[40:41], v[32:33], v[36:37], -v[40:41]
	v_fmac_f64_e32 v[42:43], v[34:35], v[36:37]
	global_load_dwordx4 v[36:39], v[24:25], off offset:1056
	ds_read_b128 v[32:35], v83 offset:1056
	ds_write_b128 v83, v[40:43] offset:15840
	s_waitcnt vmcnt(0) lgkmcnt(1)
	v_mul_f64 v[40:41], v[34:35], v[38:39]
	v_fma_f64 v[40:41], v[32:33], v[36:37], -v[40:41]
	v_mul_f64 v[42:43], v[32:33], v[38:39]
	v_add_co_u32_e64 v32, s[0:1], s0, v66
	v_fmac_f64_e32 v[42:43], v[34:35], v[36:37]
	s_nop 0
	v_addc_co_u32_e64 v33, s[0:1], 0, v67, s[0:1]
	ds_write_b128 v83, v[40:43] offset:1056
	global_load_dwordx4 v[38:41], v[32:33], off offset:2752
	ds_read_b128 v[34:37], v83 offset:4224
	s_mov_b32 s0, 0x9000
	s_waitcnt vmcnt(0) lgkmcnt(0)
	v_mul_f64 v[42:43], v[36:37], v[40:41]
	v_mul_f64 v[44:45], v[34:35], v[40:41]
	v_fma_f64 v[42:43], v[34:35], v[38:39], -v[42:43]
	v_fmac_f64_e32 v[44:45], v[36:37], v[38:39]
	global_load_dwordx4 v[38:41], v[26:27], off offset:1824
	ds_read_b128 v[34:37], v83 offset:7392
	ds_write_b128 v83, v[42:45] offset:4224
	s_waitcnt vmcnt(0) lgkmcnt(1)
	v_mul_f64 v[42:43], v[36:37], v[40:41]
	v_mul_f64 v[44:45], v[34:35], v[40:41]
	v_fma_f64 v[42:43], v[34:35], v[38:39], -v[42:43]
	v_fmac_f64_e32 v[44:45], v[36:37], v[38:39]
	global_load_dwordx4 v[38:41], v[30:31], off offset:896
	ds_read_b128 v[34:37], v83 offset:10560
	ds_write_b128 v83, v[42:45] offset:7392
	;; [unrolled: 8-line block ×6, first 2 shown]
	s_waitcnt vmcnt(0) lgkmcnt(1)
	v_mul_f64 v[24:25], v[36:37], v[40:41]
	v_fma_f64 v[32:33], v[34:35], v[38:39], -v[24:25]
	global_load_dwordx4 v[24:27], v[26:27], off offset:2880
	v_mul_f64 v[34:35], v[34:35], v[40:41]
	v_fmac_f64_e32 v[34:35], v[36:37], v[38:39]
	ds_write_b128 v83, v[32:35] offset:5280
	ds_read_b128 v[32:35], v83 offset:8448
	s_waitcnt vmcnt(0) lgkmcnt(0)
	v_mul_f64 v[36:37], v[34:35], v[26:27]
	v_fma_f64 v[36:37], v[32:33], v[24:25], -v[36:37]
	v_mul_f64 v[38:39], v[32:33], v[26:27]
	global_load_dwordx4 v[30:33], v[30:31], off offset:1952
	v_fmac_f64_e32 v[38:39], v[34:35], v[24:25]
	ds_read_b128 v[24:27], v83 offset:11616
	ds_write_b128 v83, v[36:39] offset:8448
	s_waitcnt vmcnt(0) lgkmcnt(1)
	v_mul_f64 v[34:35], v[26:27], v[32:33]
	v_mul_f64 v[36:37], v[24:25], v[32:33]
	v_fma_f64 v[34:35], v[24:25], v[30:31], -v[34:35]
	v_fmac_f64_e32 v[36:37], v[26:27], v[30:31]
	global_load_dwordx4 v[28:31], v[28:29], off offset:1024
	ds_read_b128 v[24:27], v83 offset:14784
	ds_write_b128 v83, v[34:37] offset:11616
	s_waitcnt vmcnt(0) lgkmcnt(1)
	v_mul_f64 v[32:33], v[26:27], v[30:31]
	v_mul_f64 v[34:35], v[24:25], v[30:31]
	v_fma_f64 v[32:33], v[24:25], v[28:29], -v[32:33]
	v_fmac_f64_e32 v[34:35], v[26:27], v[28:29]
	v_add_co_u32_e64 v28, s[0:1], s0, v66
	ds_read_b128 v[24:27], v83 offset:17952
	s_nop 0
	v_addc_co_u32_e64 v29, s[0:1], 0, v67, s[0:1]
	global_load_dwordx4 v[28:31], v[28:29], off offset:96
	ds_write_b128 v83, v[32:35] offset:14784
	s_waitcnt vmcnt(0) lgkmcnt(1)
	v_mul_f64 v[32:33], v[26:27], v[30:31]
	v_mul_f64 v[34:35], v[24:25], v[30:31]
	v_fma_f64 v[32:33], v[24:25], v[28:29], -v[32:33]
	v_fmac_f64_e32 v[34:35], v[26:27], v[28:29]
	ds_write_b128 v83, v[32:35] offset:17952
	s_waitcnt lgkmcnt(0)
	s_barrier
	ds_read_b128 v[28:31], v83
	ds_read_b128 v[42:45], v83 offset:3168
	ds_read_b128 v[52:55], v83 offset:6336
	;; [unrolled: 1-line block ×17, first 2 shown]
	s_waitcnt lgkmcnt(13)
	v_add_f64 v[46:47], v[52:53], v[60:61]
	v_add_f64 v[36:37], v[28:29], v[52:53]
	v_fmac_f64_e32 v[28:29], -0.5, v[46:47]
	v_add_f64 v[46:47], v[54:55], -v[62:63]
	v_fma_f64 v[88:89], s[12:13], v[46:47], v[28:29]
	v_fmac_f64_e32 v[28:29], s[8:9], v[46:47]
	v_add_f64 v[46:47], v[30:31], v[54:55]
	v_add_f64 v[54:55], v[54:55], v[62:63]
	v_fmac_f64_e32 v[30:31], -0.5, v[54:55]
	v_add_f64 v[52:53], v[52:53], -v[60:61]
	v_fma_f64 v[110:111], s[8:9], v[52:53], v[30:31]
	v_fmac_f64_e32 v[30:31], s[12:13], v[52:53]
	v_add_f64 v[52:53], v[42:43], v[56:57]
	s_waitcnt lgkmcnt(12)
	v_add_f64 v[108:109], v[52:53], v[64:65]
	v_add_f64 v[52:53], v[56:57], v[64:65]
	v_fmac_f64_e32 v[42:43], -0.5, v[52:53]
	v_add_f64 v[52:53], v[58:59], -v[66:67]
	v_add_f64 v[46:47], v[46:47], v[62:63]
	v_fma_f64 v[62:63], s[12:13], v[52:53], v[42:43]
	v_fmac_f64_e32 v[42:43], s[8:9], v[52:53]
	v_add_f64 v[52:53], v[44:45], v[58:59]
	v_add_f64 v[112:113], v[52:53], v[66:67]
	;; [unrolled: 1-line block ×3, first 2 shown]
	v_fmac_f64_e32 v[44:45], -0.5, v[52:53]
	v_add_f64 v[52:53], v[56:57], -v[64:65]
	v_fma_f64 v[58:59], s[8:9], v[52:53], v[44:45]
	v_fmac_f64_e32 v[44:45], s[12:13], v[52:53]
	v_mul_f64 v[114:115], v[44:45], s[12:13]
	v_mul_f64 v[44:45], v[44:45], -0.5
	v_mul_f64 v[66:67], v[58:59], s[12:13]
	v_mul_f64 v[116:117], v[58:59], 0.5
	v_fmac_f64_e32 v[44:45], s[8:9], v[42:43]
	v_fmac_f64_e32 v[66:67], 0.5, v[62:63]
	v_fmac_f64_e32 v[114:115], -0.5, v[42:43]
	v_fmac_f64_e32 v[116:117], s[8:9], v[62:63]
	v_add_f64 v[62:63], v[30:31], v[44:45]
	v_add_f64 v[154:155], v[30:31], -v[44:45]
	s_waitcnt lgkmcnt(7)
	v_add_f64 v[30:31], v[68:69], v[76:77]
	v_add_f64 v[36:37], v[36:37], v[60:61]
	;; [unrolled: 1-line block ×3, first 2 shown]
	v_add_f64 v[152:153], v[28:29], -v[114:115]
	v_add_f64 v[28:29], v[24:25], v[68:69]
	v_fmac_f64_e32 v[24:25], -0.5, v[30:31]
	v_add_f64 v[30:31], v[70:71], -v[78:79]
	v_add_f64 v[42:43], v[70:71], v[78:79]
	v_add_f64 v[52:53], v[36:37], v[108:109]
	;; [unrolled: 1-line block ×4, first 2 shown]
	v_add_f64 v[64:65], v[36:37], -v[108:109]
	v_add_f64 v[108:109], v[88:89], -v[66:67]
	v_add_f64 v[66:67], v[46:47], -v[112:113]
	v_fma_f64 v[36:37], s[12:13], v[30:31], v[24:25]
	v_fmac_f64_e32 v[24:25], s[8:9], v[30:31]
	v_add_f64 v[30:31], v[26:27], v[70:71]
	v_fmac_f64_e32 v[26:27], -0.5, v[42:43]
	v_add_f64 v[42:43], v[68:69], -v[76:77]
	s_waitcnt lgkmcnt(6)
	v_add_f64 v[46:47], v[72:73], v[84:85]
	v_fma_f64 v[44:45], s[8:9], v[42:43], v[26:27]
	v_fmac_f64_e32 v[26:27], s[12:13], v[42:43]
	v_add_f64 v[42:43], v[32:33], v[72:73]
	v_fmac_f64_e32 v[32:33], -0.5, v[46:47]
	v_add_f64 v[46:47], v[74:75], -v[86:87]
	v_add_f64 v[68:69], v[74:75], v[86:87]
	v_add_f64 v[28:29], v[28:29], v[76:77]
	;; [unrolled: 1-line block ×4, first 2 shown]
	v_fma_f64 v[78:79], s[12:13], v[46:47], v[32:33]
	v_fmac_f64_e32 v[32:33], s[8:9], v[46:47]
	v_add_f64 v[46:47], v[34:35], v[74:75]
	v_fmac_f64_e32 v[34:35], -0.5, v[68:69]
	v_add_f64 v[68:69], v[72:73], -v[84:85]
	v_fma_f64 v[74:75], s[8:9], v[68:69], v[34:35]
	v_fmac_f64_e32 v[34:35], s[12:13], v[68:69]
	v_add_f64 v[68:69], v[28:29], v[42:43]
	v_add_f64 v[84:85], v[28:29], -v[42:43]
	s_waitcnt lgkmcnt(3)
	v_add_f64 v[28:29], v[48:49], v[92:93]
	v_mul_f64 v[112:113], v[74:75], 0.5
	s_waitcnt lgkmcnt(1)
	v_add_f64 v[42:43], v[28:29], v[100:101]
	v_add_f64 v[28:29], v[92:93], v[100:101]
	;; [unrolled: 1-line block ×3, first 2 shown]
	v_mul_f64 v[86:87], v[74:75], s[12:13]
	v_fmac_f64_e32 v[112:113], s[8:9], v[78:79]
	v_fmac_f64_e32 v[48:49], -0.5, v[28:29]
	v_add_f64 v[28:29], v[94:95], -v[102:103]
	v_fmac_f64_e32 v[86:87], 0.5, v[78:79]
	v_add_f64 v[74:75], v[44:45], v[112:113]
	v_add_f64 v[158:159], v[44:45], -v[112:113]
	v_fma_f64 v[44:45], s[12:13], v[28:29], v[48:49]
	v_fmac_f64_e32 v[48:49], s[8:9], v[28:29]
	v_add_f64 v[28:29], v[50:51], v[94:95]
	v_add_f64 v[72:73], v[36:37], v[86:87]
	v_mul_f64 v[88:89], v[34:35], s[12:13]
	v_add_f64 v[70:71], v[30:31], v[46:47]
	v_add_f64 v[156:157], v[36:37], -v[86:87]
	v_add_f64 v[86:87], v[30:31], -v[46:47]
	v_add_f64 v[46:47], v[28:29], v[102:103]
	v_add_f64 v[28:29], v[94:95], v[102:103]
	v_fmac_f64_e32 v[88:89], -0.5, v[32:33]
	v_fmac_f64_e32 v[50:51], -0.5, v[28:29]
	v_add_f64 v[28:29], v[92:93], -v[100:101]
	v_add_f64 v[76:77], v[24:25], v[88:89]
	v_add_f64 v[24:25], v[24:25], -v[88:89]
	v_fma_f64 v[88:89], s[8:9], v[28:29], v[50:51]
	v_fmac_f64_e32 v[50:51], s[12:13], v[28:29]
	v_add_f64 v[28:29], v[38:39], v[96:97]
	v_mul_f64 v[34:35], v[34:35], -0.5
	s_waitcnt lgkmcnt(0)
	v_add_f64 v[92:93], v[28:29], v[104:105]
	v_add_f64 v[28:29], v[96:97], v[104:105]
	v_fmac_f64_e32 v[34:35], s[8:9], v[32:33]
	v_fmac_f64_e32 v[38:39], -0.5, v[28:29]
	v_add_f64 v[28:29], v[98:99], -v[106:107]
	v_add_f64 v[78:79], v[26:27], v[34:35]
	v_add_f64 v[26:27], v[26:27], -v[34:35]
	v_fma_f64 v[34:35], s[12:13], v[28:29], v[38:39]
	v_fmac_f64_e32 v[38:39], s[8:9], v[28:29]
	v_add_f64 v[28:29], v[40:41], v[98:99]
	v_add_f64 v[94:95], v[28:29], v[106:107]
	;; [unrolled: 1-line block ×3, first 2 shown]
	v_fmac_f64_e32 v[40:41], -0.5, v[28:29]
	v_add_f64 v[28:29], v[96:97], -v[104:105]
	v_fma_f64 v[96:97], s[8:9], v[28:29], v[40:41]
	v_fmac_f64_e32 v[40:41], s[12:13], v[28:29]
	v_mul_f64 v[98:99], v[96:97], s[12:13]
	v_mul_f64 v[100:101], v[40:41], s[12:13]
	v_mul_f64 v[96:97], v[96:97], 0.5
	v_mul_f64 v[102:103], v[40:41], -0.5
	v_add_f64 v[58:59], v[110:111], v[116:117]
	v_add_f64 v[110:111], v[110:111], -v[116:117]
	v_add_f64 v[28:29], v[42:43], v[92:93]
	v_fmac_f64_e32 v[98:99], 0.5, v[34:35]
	v_fmac_f64_e32 v[100:101], -0.5, v[38:39]
	v_add_f64 v[30:31], v[46:47], v[94:95]
	v_fmac_f64_e32 v[96:97], s[8:9], v[34:35]
	v_fmac_f64_e32 v[102:103], s[8:9], v[38:39]
	s_barrier
	ds_write_b128 v126, v[52:55]
	ds_write_b128 v126, v[56:59] offset:16
	ds_write_b128 v126, v[60:63] offset:32
	ds_write_b128 v126, v[64:67] offset:48
	ds_write_b128 v126, v[108:111] offset:64
	ds_write_b128 v126, v[152:155] offset:80
	ds_write_b128 v127, v[68:71]
	ds_write_b128 v127, v[72:75] offset:16
	ds_write_b128 v127, v[76:79] offset:32
	;; [unrolled: 1-line block ×5, first 2 shown]
	v_accvgpr_read_b32 v52, a119
	v_add_f64 v[32:33], v[44:45], v[98:99]
	v_add_f64 v[36:37], v[48:49], v[100:101]
	;; [unrolled: 1-line block ×4, first 2 shown]
	v_add_f64 v[40:41], v[42:43], -v[92:93]
	v_add_f64 v[44:45], v[44:45], -v[98:99]
	v_add_f64 v[48:49], v[48:49], -v[100:101]
	v_add_f64 v[42:43], v[46:47], -v[94:95]
	v_add_f64 v[46:47], v[88:89], -v[96:97]
	v_add_f64 v[50:51], v[50:51], -v[102:103]
	ds_write_b128 v52, v[28:31]
	ds_write_b128 v52, v[32:35] offset:16
	ds_write_b128 v52, v[36:39] offset:32
	;; [unrolled: 1-line block ×5, first 2 shown]
	s_waitcnt lgkmcnt(0)
	s_barrier
	ds_read_b128 v[52:55], v83
	ds_read_b128 v[76:79], v83 offset:1728
	ds_read_b128 v[72:75], v83 offset:3456
	;; [unrolled: 1-line block ×10, first 2 shown]
	s_and_saveexec_b64 s[0:1], vcc
	s_cbranch_execz .LBB0_7
; %bb.6:
	ds_read_b128 v[24:27], v83 offset:1056
	ds_read_b128 v[28:31], v83 offset:2784
	;; [unrolled: 1-line block ×11, first 2 shown]
.LBB0_7:
	s_or_b64 exec, exec, s[0:1]
	v_add_u32_e32 v84, 0x840, v90
	v_accvgpr_write_b32 a159, v84
	v_add_u32_e32 v84, 0xc60, v90
	v_accvgpr_write_b32 a158, v84
	;; [unrolled: 2-line block ×4, first 2 shown]
	v_accvgpr_read_b32 v84, a132
	v_accvgpr_read_b32 v86, a134
	;; [unrolled: 1-line block ×4, first 2 shown]
	s_waitcnt lgkmcnt(9)
	v_mul_f64 v[90:91], v[86:87], v[78:79]
	v_fmac_f64_e32 v[90:91], v[84:85], v[76:77]
	v_mul_f64 v[76:77], v[86:87], v[76:77]
	v_fma_f64 v[92:93], v[84:85], v[78:79], -v[76:77]
	v_accvgpr_read_b32 v76, a128
	v_accvgpr_read_b32 v78, a130
	;; [unrolled: 1-line block ×3, first 2 shown]
	s_waitcnt lgkmcnt(3)
	v_mul_f64 v[88:89], v[146:147], v[70:71]
	v_accvgpr_read_b32 v77, a129
	v_mul_f64 v[94:95], v[78:79], v[74:75]
	v_fmac_f64_e32 v[88:89], v[144:145], v[68:69]
	v_mul_f64 v[68:69], v[146:147], v[68:69]
	v_fmac_f64_e32 v[94:95], v[76:77], v[72:73]
	v_mul_f64 v[72:73], v[78:79], v[72:73]
	v_fma_f64 v[68:69], v[144:145], v[70:71], -v[68:69]
	s_waitcnt lgkmcnt(2)
	v_mul_f64 v[70:71], v[138:139], v[66:67]
	v_fma_f64 v[96:97], v[76:77], v[74:75], -v[72:73]
	v_accvgpr_read_b32 v74, a124
	v_fmac_f64_e32 v[70:71], v[136:137], v[64:65]
	v_mul_f64 v[64:65], v[138:139], v[64:65]
	v_accvgpr_read_b32 v76, a126
	v_accvgpr_read_b32 v77, a127
	v_fma_f64 v[64:65], v[136:137], v[66:67], -v[64:65]
	s_waitcnt lgkmcnt(1)
	v_mul_f64 v[66:67], v[142:143], v[62:63]
	v_accvgpr_read_b32 v75, a125
	v_mul_f64 v[98:99], v[76:77], v[174:175]
	v_mul_f64 v[72:73], v[76:77], v[172:173]
	v_fmac_f64_e32 v[66:67], v[140:141], v[60:61]
	v_mul_f64 v[60:61], v[142:143], v[60:61]
	v_fmac_f64_e32 v[98:99], v[74:75], v[172:173]
	v_fma_f64 v[100:101], v[74:75], v[174:175], -v[72:73]
	v_accvgpr_read_b32 v74, a120
	v_fma_f64 v[60:61], v[140:141], v[62:63], -v[60:61]
	s_waitcnt lgkmcnt(0)
	v_mul_f64 v[62:63], v[134:135], v[58:59]
	v_accvgpr_read_b32 v76, a122
	v_accvgpr_read_b32 v77, a123
	v_fmac_f64_e32 v[62:63], v[132:133], v[56:57]
	v_mul_f64 v[56:57], v[134:135], v[56:57]
	v_add_f64 v[102:103], v[54:55], v[92:93]
	v_accvgpr_read_b32 v75, a121
	v_mul_f64 v[84:85], v[76:77], v[166:167]
	v_mul_f64 v[72:73], v[76:77], v[164:165]
	v_fma_f64 v[56:57], v[132:133], v[58:59], -v[56:57]
	v_add_f64 v[58:59], v[52:53], v[90:91]
	v_add_f64 v[102:103], v[102:103], v[96:97]
	v_fmac_f64_e32 v[84:85], v[74:75], v[164:165]
	v_fma_f64 v[86:87], v[74:75], v[166:167], -v[72:73]
	v_mul_f64 v[74:75], v[130:131], v[156:157]
	v_add_f64 v[58:59], v[58:59], v[94:95]
	v_add_f64 v[102:103], v[102:103], v[100:101]
	v_mul_f64 v[72:73], v[130:131], v[158:159]
	v_fma_f64 v[74:75], v[128:129], v[158:159], -v[74:75]
	v_mul_f64 v[78:79], v[150:151], v[152:153]
	v_add_f64 v[58:59], v[58:59], v[98:99]
	v_add_f64 v[102:103], v[102:103], v[86:87]
	v_fmac_f64_e32 v[72:73], v[128:129], v[156:157]
	v_mul_f64 v[76:77], v[150:151], v[154:155]
	v_fma_f64 v[78:79], v[148:149], v[154:155], -v[78:79]
	v_add_f64 v[58:59], v[58:59], v[84:85]
	v_add_f64 v[102:103], v[102:103], v[74:75]
	v_fmac_f64_e32 v[76:77], v[148:149], v[152:153]
	v_add_f64 v[58:59], v[58:59], v[72:73]
	v_add_f64 v[102:103], v[102:103], v[78:79]
	;; [unrolled: 1-line block ×8, first 2 shown]
	s_mov_b32 s8, 0xf8bb580b
	s_mov_b32 s12, 0x8eee2c13
	;; [unrolled: 1-line block ×5, first 2 shown]
	v_add_f64 v[58:59], v[58:59], v[66:67]
	v_add_f64 v[114:115], v[102:103], v[56:57]
	;; [unrolled: 1-line block ×3, first 2 shown]
	v_add_f64 v[56:57], v[92:93], -v[56:57]
	s_mov_b32 s9, 0xbfe14ced
	s_mov_b32 s0, 0x8764f0ba
	;; [unrolled: 1-line block ×9, first 2 shown]
	v_add_f64 v[112:113], v[58:59], v[62:63]
	v_add_f64 v[58:59], v[90:91], v[62:63]
	v_add_f64 v[62:63], v[90:91], -v[62:63]
	v_mul_f64 v[90:91], v[56:57], s[8:9]
	s_mov_b32 s1, 0x3feaeb8c
	v_mul_f64 v[108:109], v[56:57], s[12:13]
	s_mov_b32 s11, 0x3fda9628
	;; [unrolled: 2-line block ×4, first 2 shown]
	v_mul_f64 v[56:57], v[56:57], s[26:27]
	v_fma_f64 v[92:93], s[0:1], v[58:59], v[90:91]
	v_mul_f64 v[104:105], v[102:103], s[0:1]
	s_mov_b32 s25, 0x3fe14ced
	s_mov_b32 s24, s8
	v_fma_f64 v[90:91], v[58:59], s[0:1], -v[90:91]
	v_fma_f64 v[110:111], s[10:11], v[58:59], v[108:109]
	v_mul_f64 v[116:117], v[102:103], s[10:11]
	s_mov_b32 s31, 0x3fed1bb4
	s_mov_b32 s30, s12
	v_fma_f64 v[108:109], v[58:59], s[10:11], -v[108:109]
	;; [unrolled: 5-line block ×4, first 2 shown]
	v_fma_f64 v[136:137], s[22:23], v[58:59], v[56:57]
	v_mul_f64 v[102:103], v[102:103], s[22:23]
	s_mov_b32 s34, s26
	v_fma_f64 v[56:57], v[58:59], s[22:23], -v[56:57]
	v_add_f64 v[58:59], v[96:97], v[60:61]
	v_add_f64 v[60:61], v[96:97], -v[60:61]
	v_add_f64 v[92:93], v[52:53], v[92:93]
	v_fma_f64 v[106:107], s[24:25], v[62:63], v[104:105]
	v_add_f64 v[90:91], v[52:53], v[90:91]
	v_fmac_f64_e32 v[104:105], s[8:9], v[62:63]
	v_add_f64 v[110:111], v[52:53], v[110:111]
	v_fma_f64 v[118:119], s[30:31], v[62:63], v[116:117]
	v_add_f64 v[108:109], v[52:53], v[108:109]
	v_fmac_f64_e32 v[116:117], s[12:13], v[62:63]
	;; [unrolled: 4-line block ×5, first 2 shown]
	v_add_f64 v[56:57], v[94:95], v[66:67]
	v_add_f64 v[62:63], v[94:95], -v[66:67]
	v_mul_f64 v[66:67], v[60:61], s[12:13]
	v_fma_f64 v[94:95], s[10:11], v[56:57], v[66:67]
	v_add_f64 v[92:93], v[94:95], v[92:93]
	v_mul_f64 v[94:95], v[58:59], s[10:11]
	v_add_f64 v[104:105], v[54:55], v[104:105]
	v_fma_f64 v[96:97], s[30:31], v[62:63], v[94:95]
	v_fma_f64 v[66:67], v[56:57], s[10:11], -v[66:67]
	v_fmac_f64_e32 v[94:95], s[12:13], v[62:63]
	v_add_f64 v[66:67], v[66:67], v[90:91]
	v_add_f64 v[90:91], v[94:95], v[104:105]
	v_mul_f64 v[94:95], v[60:61], s[20:21]
	v_add_f64 v[106:107], v[54:55], v[106:107]
	v_add_f64 v[118:119], v[54:55], v[118:119]
	;; [unrolled: 1-line block ×9, first 2 shown]
	v_fma_f64 v[102:103], s[18:19], v[56:57], v[94:95]
	v_mul_f64 v[104:105], v[58:59], s[18:19]
	v_fma_f64 v[94:95], v[56:57], s[18:19], -v[94:95]
	v_add_f64 v[96:97], v[96:97], v[106:107]
	v_fma_f64 v[106:107], s[36:37], v[62:63], v[104:105]
	v_add_f64 v[94:95], v[94:95], v[108:109]
	v_fmac_f64_e32 v[104:105], s[20:21], v[62:63]
	v_mul_f64 v[108:109], v[60:61], s[34:35]
	v_add_f64 v[102:103], v[102:103], v[110:111]
	v_add_f64 v[104:105], v[104:105], v[116:117]
	v_fma_f64 v[110:111], s[22:23], v[56:57], v[108:109]
	v_mul_f64 v[116:117], v[58:59], s[22:23]
	v_fma_f64 v[108:109], v[56:57], s[22:23], -v[108:109]
	v_add_f64 v[106:107], v[106:107], v[118:119]
	v_fma_f64 v[118:119], s[26:27], v[62:63], v[116:117]
	v_add_f64 v[108:109], v[108:109], v[120:121]
	v_fmac_f64_e32 v[116:117], s[34:35], v[62:63]
	v_mul_f64 v[120:121], v[60:61], s[28:29]
	v_add_f64 v[110:111], v[110:111], v[122:123]
	v_add_f64 v[116:117], v[116:117], v[124:125]
	v_fma_f64 v[122:123], s[14:15], v[56:57], v[120:121]
	v_mul_f64 v[124:125], v[58:59], s[14:15]
	v_fma_f64 v[120:121], v[56:57], s[14:15], -v[120:121]
	v_mul_f64 v[60:61], v[60:61], s[24:25]
	v_mul_f64 v[58:59], v[58:59], s[0:1]
	v_add_f64 v[118:119], v[118:119], v[126:127]
	v_add_f64 v[122:123], v[122:123], v[130:131]
	v_fma_f64 v[126:127], s[16:17], v[62:63], v[124:125]
	v_add_f64 v[120:121], v[120:121], v[128:129]
	v_fmac_f64_e32 v[124:125], s[28:29], v[62:63]
	v_fma_f64 v[128:129], s[0:1], v[56:57], v[60:61]
	v_fma_f64 v[130:131], s[8:9], v[62:63], v[58:59]
	v_fma_f64 v[56:57], v[56:57], s[0:1], -v[60:61]
	v_fmac_f64_e32 v[58:59], s[24:25], v[62:63]
	v_add_f64 v[62:63], v[100:101], -v[64:65]
	v_add_f64 v[52:53], v[56:57], v[52:53]
	v_add_f64 v[54:55], v[58:59], v[54:55]
	;; [unrolled: 1-line block ×4, first 2 shown]
	v_mul_f64 v[64:65], v[62:63], s[16:17]
	v_add_f64 v[60:61], v[98:99], -v[70:71]
	v_fma_f64 v[70:71], s[14:15], v[56:57], v[64:65]
	v_add_f64 v[70:71], v[70:71], v[92:93]
	v_mul_f64 v[92:93], v[58:59], s[14:15]
	v_fma_f64 v[98:99], s[28:29], v[60:61], v[92:93]
	v_fma_f64 v[64:65], v[56:57], s[14:15], -v[64:65]
	v_fmac_f64_e32 v[92:93], s[16:17], v[60:61]
	v_add_f64 v[96:97], v[98:99], v[96:97]
	v_add_f64 v[64:65], v[64:65], v[66:67]
	;; [unrolled: 1-line block ×3, first 2 shown]
	v_mul_f64 v[90:91], v[62:63], s[34:35]
	v_mul_f64 v[98:99], v[58:59], s[22:23]
	v_fma_f64 v[92:93], s[22:23], v[56:57], v[90:91]
	v_fma_f64 v[100:101], s[26:27], v[60:61], v[98:99]
	v_fma_f64 v[90:91], v[56:57], s[22:23], -v[90:91]
	v_fmac_f64_e32 v[98:99], s[34:35], v[60:61]
	v_add_f64 v[90:91], v[90:91], v[94:95]
	v_add_f64 v[94:95], v[98:99], v[104:105]
	v_mul_f64 v[98:99], v[62:63], s[30:31]
	v_add_f64 v[92:93], v[92:93], v[102:103]
	v_fma_f64 v[102:103], s[10:11], v[56:57], v[98:99]
	v_mul_f64 v[104:105], v[58:59], s[10:11]
	v_fma_f64 v[98:99], v[56:57], s[10:11], -v[98:99]
	v_add_f64 v[100:101], v[100:101], v[106:107]
	v_fma_f64 v[106:107], s[12:13], v[60:61], v[104:105]
	v_add_f64 v[98:99], v[98:99], v[108:109]
	v_fmac_f64_e32 v[104:105], s[30:31], v[60:61]
	v_mul_f64 v[108:109], v[62:63], s[8:9]
	v_add_f64 v[102:103], v[102:103], v[110:111]
	v_add_f64 v[104:105], v[104:105], v[116:117]
	v_fma_f64 v[110:111], s[0:1], v[56:57], v[108:109]
	v_mul_f64 v[116:117], v[58:59], s[0:1]
	v_fma_f64 v[108:109], v[56:57], s[0:1], -v[108:109]
	v_mul_f64 v[62:63], v[62:63], s[20:21]
	v_mul_f64 v[58:59], v[58:59], s[18:19]
	v_add_f64 v[110:111], v[110:111], v[122:123]
	v_add_f64 v[108:109], v[108:109], v[120:121]
	v_fma_f64 v[120:121], s[18:19], v[56:57], v[62:63]
	v_fma_f64 v[122:123], s[36:37], v[60:61], v[58:59]
	v_fma_f64 v[56:57], v[56:57], s[18:19], -v[62:63]
	v_fmac_f64_e32 v[58:59], s[20:21], v[60:61]
	v_add_f64 v[62:63], v[86:87], -v[68:69]
	v_add_f64 v[52:53], v[56:57], v[52:53]
	v_add_f64 v[54:55], v[58:59], v[54:55]
	;; [unrolled: 1-line block ×4, first 2 shown]
	v_mul_f64 v[68:69], v[62:63], s[20:21]
	v_add_f64 v[106:107], v[106:107], v[118:119]
	v_fma_f64 v[118:119], s[24:25], v[60:61], v[116:117]
	v_fmac_f64_e32 v[116:117], s[8:9], v[60:61]
	v_add_f64 v[60:61], v[84:85], -v[88:89]
	v_fma_f64 v[84:85], s[18:19], v[56:57], v[68:69]
	v_add_f64 v[70:71], v[84:85], v[70:71]
	v_mul_f64 v[84:85], v[58:59], s[18:19]
	v_fma_f64 v[68:69], v[56:57], s[18:19], -v[68:69]
	v_fma_f64 v[86:87], s[36:37], v[60:61], v[84:85]
	v_add_f64 v[64:65], v[68:69], v[64:65]
	v_fmac_f64_e32 v[84:85], s[20:21], v[60:61]
	v_mul_f64 v[68:69], v[62:63], s[28:29]
	v_add_f64 v[66:67], v[84:85], v[66:67]
	v_fma_f64 v[84:85], s[14:15], v[56:57], v[68:69]
	v_mul_f64 v[88:89], v[58:59], s[14:15]
	v_fma_f64 v[68:69], v[56:57], s[14:15], -v[68:69]
	v_add_f64 v[84:85], v[84:85], v[92:93]
	v_fma_f64 v[92:93], s[16:17], v[60:61], v[88:89]
	v_add_f64 v[68:69], v[68:69], v[90:91]
	v_fmac_f64_e32 v[88:89], s[28:29], v[60:61]
	v_mul_f64 v[90:91], v[62:63], s[8:9]
	v_add_f64 v[86:87], v[86:87], v[96:97]
	v_add_f64 v[88:89], v[88:89], v[94:95]
	v_fma_f64 v[94:95], s[0:1], v[56:57], v[90:91]
	v_mul_f64 v[96:97], v[58:59], s[0:1]
	v_fma_f64 v[90:91], v[56:57], s[0:1], -v[90:91]
	v_add_f64 v[92:93], v[92:93], v[100:101]
	v_fma_f64 v[100:101], s[24:25], v[60:61], v[96:97]
	v_add_f64 v[90:91], v[90:91], v[98:99]
	v_fmac_f64_e32 v[96:97], s[8:9], v[60:61]
	v_mul_f64 v[98:99], v[62:63], s[26:27]
	v_add_f64 v[126:127], v[126:127], v[134:135]
	v_add_f64 v[124:125], v[124:125], v[132:133]
	;; [unrolled: 1-line block ×6, first 2 shown]
	v_fma_f64 v[102:103], s[22:23], v[56:57], v[98:99]
	v_mul_f64 v[104:105], v[58:59], s[22:23]
	v_fma_f64 v[98:99], v[56:57], s[22:23], -v[98:99]
	v_mul_f64 v[62:63], v[62:63], s[30:31]
	v_mul_f64 v[58:59], v[58:59], s[10:11]
	v_add_f64 v[118:119], v[118:119], v[126:127]
	v_add_f64 v[116:117], v[116:117], v[124:125]
	;; [unrolled: 1-line block ×6, first 2 shown]
	v_fma_f64 v[106:107], s[34:35], v[60:61], v[104:105]
	v_add_f64 v[98:99], v[98:99], v[108:109]
	v_fmac_f64_e32 v[104:105], s[26:27], v[60:61]
	v_fma_f64 v[108:109], s[10:11], v[56:57], v[62:63]
	v_fma_f64 v[110:111], s[12:13], v[60:61], v[58:59]
	v_fma_f64 v[56:57], v[56:57], s[10:11], -v[62:63]
	v_add_f64 v[126:127], v[74:75], -v[78:79]
	v_add_f64 v[104:105], v[104:105], v[116:117]
	v_add_f64 v[108:109], v[108:109], v[120:121]
	;; [unrolled: 1-line block ×4, first 2 shown]
	v_fmac_f64_e32 v[58:59], s[30:31], v[60:61]
	v_add_f64 v[120:121], v[72:73], v[76:77]
	v_add_f64 v[122:123], v[74:75], v[78:79]
	v_mul_f64 v[56:57], v[126:127], s[26:27]
	v_add_f64 v[106:107], v[106:107], v[118:119]
	v_add_f64 v[118:119], v[58:59], v[54:55]
	v_add_f64 v[124:125], v[72:73], -v[76:77]
	v_fma_f64 v[52:53], s[22:23], v[120:121], v[56:57]
	v_mul_f64 v[58:59], v[122:123], s[22:23]
	v_fma_f64 v[56:57], v[120:121], s[22:23], -v[56:57]
	v_fma_f64 v[54:55], s[34:35], v[124:125], v[58:59]
	v_add_f64 v[56:57], v[56:57], v[64:65]
	v_fmac_f64_e32 v[58:59], s[26:27], v[124:125]
	v_mul_f64 v[64:65], v[126:127], s[24:25]
	v_add_f64 v[58:59], v[58:59], v[66:67]
	v_fma_f64 v[60:61], s[0:1], v[120:121], v[64:65]
	v_mul_f64 v[66:67], v[122:123], s[0:1]
	v_fma_f64 v[64:65], v[120:121], s[0:1], -v[64:65]
	v_mul_f64 v[72:73], v[126:127], s[20:21]
	v_fma_f64 v[62:63], s[8:9], v[124:125], v[66:67]
	v_add_f64 v[64:65], v[64:65], v[68:69]
	v_fma_f64 v[68:69], s[18:19], v[120:121], v[72:73]
	v_add_f64 v[54:55], v[54:55], v[86:87]
	v_add_f64 v[60:61], v[60:61], v[84:85]
	;; [unrolled: 1-line block ×3, first 2 shown]
	v_fmac_f64_e32 v[66:67], s[24:25], v[124:125]
	v_add_f64 v[68:69], v[68:69], v[94:95]
	v_mul_f64 v[74:75], v[122:123], s[18:19]
	v_fma_f64 v[72:73], v[120:121], s[18:19], -v[72:73]
	v_mul_f64 v[84:85], v[126:127], s[30:31]
	v_mul_f64 v[86:87], v[122:123], s[10:11]
	;; [unrolled: 1-line block ×4, first 2 shown]
	v_add_f64 v[52:53], v[52:53], v[70:71]
	v_add_f64 v[66:67], v[66:67], v[88:89]
	v_fma_f64 v[70:71], s[36:37], v[124:125], v[74:75]
	v_add_f64 v[72:73], v[72:73], v[90:91]
	v_fmac_f64_e32 v[74:75], s[20:21], v[124:125]
	v_fma_f64 v[76:77], s[10:11], v[120:121], v[84:85]
	v_fma_f64 v[78:79], s[12:13], v[124:125], v[86:87]
	v_fma_f64 v[84:85], v[120:121], s[10:11], -v[84:85]
	v_fmac_f64_e32 v[86:87], s[30:31], v[124:125]
	v_fma_f64 v[88:89], s[14:15], v[120:121], v[92:93]
	v_fma_f64 v[90:91], s[28:29], v[124:125], v[94:95]
	v_fma_f64 v[92:93], v[120:121], s[14:15], -v[92:93]
	v_fmac_f64_e32 v[94:95], s[16:17], v[124:125]
	v_add_f64 v[70:71], v[70:71], v[100:101]
	v_add_f64 v[74:75], v[74:75], v[96:97]
	;; [unrolled: 1-line block ×10, first 2 shown]
	s_barrier
	ds_write_b128 v82, v[112:115]
	ds_write_b128 v82, v[52:55] offset:96
	ds_write_b128 v82, v[60:63] offset:192
	;; [unrolled: 1-line block ×10, first 2 shown]
	s_and_saveexec_b64 s[36:37], vcc
	s_cbranch_execz .LBB0_9
; %bb.8:
	v_accvgpr_read_b32 v62, a110
	v_accvgpr_read_b32 v64, a112
	;; [unrolled: 1-line block ×4, first 2 shown]
	v_mul_f64 v[52:53], v[64:65], v[46:47]
	v_accvgpr_read_b32 v58, a106
	v_fmac_f64_e32 v[52:53], v[62:63], v[44:45]
	v_accvgpr_read_b32 v60, a108
	v_accvgpr_read_b32 v61, a109
	v_mul_f64 v[44:45], v[64:65], v[44:45]
	v_accvgpr_read_b32 v59, a107
	v_mul_f64 v[54:55], v[60:61], v[50:51]
	v_fma_f64 v[56:57], v[62:63], v[46:47], -v[44:45]
	v_mul_f64 v[44:45], v[60:61], v[48:49]
	v_fmac_f64_e32 v[54:55], v[58:59], v[48:49]
	v_fma_f64 v[48:49], v[58:59], v[50:51], -v[44:45]
	v_accvgpr_read_b32 v58, a90
	v_accvgpr_read_b32 v60, a92
	v_accvgpr_read_b32 v61, a93
	v_accvgpr_read_b32 v59, a91
	v_mul_f64 v[44:45], v[60:61], v[42:43]
	v_accvgpr_read_b32 v64, a98
	v_accvgpr_read_b32 v68, a148
	v_fmac_f64_e32 v[44:45], v[58:59], v[40:41]
	v_accvgpr_read_b32 v66, a100
	v_accvgpr_read_b32 v67, a101
	v_accvgpr_read_b32 v69, a149
	v_accvgpr_read_b32 v70, a150
	v_accvgpr_read_b32 v71, a151
	v_mul_f64 v[40:41], v[60:61], v[40:41]
	v_accvgpr_read_b32 v65, a99
	v_mul_f64 v[46:47], v[66:67], v[70:71]
	v_fma_f64 v[62:63], v[58:59], v[42:43], -v[40:41]
	v_mul_f64 v[40:41], v[66:67], v[68:69]
	v_fmac_f64_e32 v[46:47], v[64:65], v[68:69]
	v_fma_f64 v[60:61], v[64:65], v[70:71], -v[40:41]
	v_accvgpr_read_b32 v64, a86
	v_accvgpr_read_b32 v66, a88
	v_accvgpr_read_b32 v67, a89
	v_accvgpr_read_b32 v65, a87
	v_mul_f64 v[58:59], v[66:67], v[38:39]
	v_accvgpr_read_b32 v76, a94
	v_accvgpr_read_b32 v88, a144
	v_fmac_f64_e32 v[58:59], v[64:65], v[36:37]
	v_accvgpr_read_b32 v78, a96
	v_accvgpr_read_b32 v79, a97
	v_accvgpr_read_b32 v89, a145
	;; [unrolled: 20-line block ×3, first 2 shown]
	v_accvgpr_read_b32 v96, a142
	v_accvgpr_read_b32 v97, a143
	v_mul_f64 v[32:33], v[78:79], v[32:33]
	v_accvgpr_read_b32 v89, a115
	v_mul_f64 v[64:65], v[90:91], v[96:97]
	v_fma_f64 v[84:85], v[76:77], v[34:35], -v[32:33]
	v_mul_f64 v[32:33], v[90:91], v[94:95]
	v_fmac_f64_e32 v[64:65], v[88:89], v[94:95]
	v_fma_f64 v[78:79], v[88:89], v[96:97], -v[32:33]
	v_accvgpr_read_b32 v91, a81
	v_accvgpr_read_b32 v90, a80
	;; [unrolled: 1-line block ×6, first 2 shown]
	v_mul_f64 v[76:77], v[90:91], v[30:31]
	v_accvgpr_read_b32 v106, a104
	v_accvgpr_read_b32 v110, a138
	;; [unrolled: 1-line block ×3, first 2 shown]
	v_fmac_f64_e32 v[76:77], v[88:89], v[28:29]
	v_accvgpr_read_b32 v105, a103
	v_accvgpr_read_b32 v104, a102
	;; [unrolled: 1-line block ×3, first 2 shown]
	v_mul_f64 v[72:73], v[106:107], v[110:111]
	v_mul_f64 v[28:29], v[90:91], v[28:29]
	v_fmac_f64_e32 v[72:73], v[104:105], v[108:109]
	v_fma_f64 v[90:91], v[88:89], v[30:31], -v[28:29]
	v_mul_f64 v[28:29], v[106:107], v[108:109]
	v_add_f64 v[116:117], v[76:77], -v[72:73]
	v_fma_f64 v[88:89], v[104:105], v[110:111], -v[28:29]
	v_add_f64 v[114:115], v[66:67], -v[64:65]
	v_mul_f64 v[34:35], v[116:117], s[26:27]
	v_add_f64 v[96:97], v[90:91], v[88:89]
	v_add_f64 v[102:103], v[58:59], -v[50:51]
	v_mul_f64 v[38:39], v[114:115], s[24:25]
	v_add_f64 v[94:95], v[84:85], v[78:79]
	v_fma_f64 v[28:29], s[22:23], v[96:97], v[34:35]
	v_add_f64 v[142:143], v[90:91], -v[88:89]
	v_add_f64 v[100:101], v[44:45], -v[46:47]
	v_mul_f64 v[42:43], v[102:103], s[20:21]
	v_add_f64 v[92:93], v[70:71], v[68:69]
	v_fma_f64 v[32:33], s[0:1], v[94:95], v[38:39]
	v_add_f64 v[28:29], v[26:27], v[28:29]
	v_add_f64 v[140:141], v[84:85], -v[78:79]
	v_add_f64 v[110:111], v[76:77], v[72:73]
	v_mul_f64 v[136:137], v[142:143], s[26:27]
	v_add_f64 v[112:113], v[52:53], -v[54:55]
	v_mul_f64 v[126:127], v[100:101], s[30:31]
	v_add_f64 v[86:87], v[62:63], v[60:61]
	v_fma_f64 v[36:37], s[18:19], v[92:93], v[42:43]
	v_add_f64 v[28:29], v[32:33], v[28:29]
	v_add_f64 v[122:123], v[70:71], -v[68:69]
	v_add_f64 v[108:109], v[66:67], v[64:65]
	v_mul_f64 v[132:133], v[140:141], s[24:25]
	v_fma_f64 v[138:139], v[110:111], s[22:23], -v[136:137]
	v_mul_f64 v[124:125], v[112:113], s[16:17]
	v_add_f64 v[74:75], v[56:57], v[48:49]
	v_fma_f64 v[40:41], s[10:11], v[86:87], v[126:127]
	v_add_f64 v[28:29], v[36:37], v[28:29]
	v_add_f64 v[120:121], v[62:63], -v[60:61]
	v_add_f64 v[106:107], v[58:59], v[50:51]
	v_mul_f64 v[128:129], v[122:123], s[20:21]
	v_fma_f64 v[134:135], v[108:109], s[0:1], -v[132:133]
	v_add_f64 v[138:139], v[24:25], v[138:139]
	v_fma_f64 v[34:35], v[96:97], s[22:23], -v[34:35]
	v_fma_f64 v[98:99], s[14:15], v[74:75], v[124:125]
	v_add_f64 v[28:29], v[40:41], v[28:29]
	v_add_f64 v[118:119], v[56:57], -v[48:49]
	v_add_f64 v[104:105], v[44:45], v[46:47]
	v_mul_f64 v[36:37], v[120:121], s[30:31]
	v_fma_f64 v[130:131], v[106:107], s[18:19], -v[128:129]
	v_add_f64 v[134:135], v[134:135], v[138:139]
	v_fma_f64 v[38:39], v[94:95], s[0:1], -v[38:39]
	v_add_f64 v[34:35], v[26:27], v[34:35]
	v_fmac_f64_e32 v[136:137], s[22:23], v[110:111]
	v_add_f64 v[30:31], v[98:99], v[28:29]
	v_add_f64 v[98:99], v[52:53], v[54:55]
	v_mul_f64 v[32:33], v[118:119], s[16:17]
	v_fma_f64 v[40:41], v[104:105], s[10:11], -v[36:37]
	v_add_f64 v[130:131], v[130:131], v[134:135]
	v_add_f64 v[34:35], v[38:39], v[34:35]
	v_fmac_f64_e32 v[132:133], s[0:1], v[108:109]
	v_add_f64 v[38:39], v[24:25], v[136:137]
	v_fma_f64 v[28:29], v[98:99], s[14:15], -v[32:33]
	v_add_f64 v[40:41], v[40:41], v[130:131]
	v_fma_f64 v[42:43], v[92:93], s[18:19], -v[42:43]
	v_fmac_f64_e32 v[128:129], s[18:19], v[106:107]
	v_add_f64 v[38:39], v[132:133], v[38:39]
	v_mul_f64 v[132:133], v[116:117], s[20:21]
	v_add_f64 v[28:29], v[28:29], v[40:41]
	v_fma_f64 v[40:41], v[74:75], s[14:15], -v[124:125]
	v_fma_f64 v[124:125], v[86:87], s[10:11], -v[126:127]
	v_add_f64 v[34:35], v[42:43], v[34:35]
	v_add_f64 v[38:39], v[128:129], v[38:39]
	v_mul_f64 v[128:129], v[114:115], s[28:29]
	v_fma_f64 v[134:135], s[18:19], v[96:97], v[132:133]
	v_fma_f64 v[132:133], v[96:97], s[18:19], -v[132:133]
	v_add_f64 v[34:35], v[124:125], v[34:35]
	v_mul_f64 v[124:125], v[102:103], s[8:9]
	v_fma_f64 v[130:131], s[14:15], v[94:95], v[128:129]
	v_fma_f64 v[128:129], v[94:95], s[14:15], -v[128:129]
	v_add_f64 v[132:133], v[26:27], v[132:133]
	v_fmac_f64_e32 v[36:37], s[10:11], v[104:105]
	v_mul_f64 v[42:43], v[100:101], s[26:27]
	v_fma_f64 v[126:127], s[0:1], v[92:93], v[124:125]
	v_fma_f64 v[124:125], v[92:93], s[0:1], -v[124:125]
	v_add_f64 v[128:129], v[128:129], v[132:133]
	v_add_f64 v[34:35], v[40:41], v[34:35]
	v_fmac_f64_e32 v[32:33], s[14:15], v[98:99]
	v_add_f64 v[36:37], v[36:37], v[38:39]
	v_mul_f64 v[40:41], v[112:113], s[30:31]
	v_fma_f64 v[38:39], s[22:23], v[86:87], v[42:43]
	v_mul_f64 v[148:149], v[142:143], s[20:21]
	v_fma_f64 v[42:43], v[86:87], s[22:23], -v[42:43]
	v_add_f64 v[124:125], v[124:125], v[128:129]
	v_add_f64 v[32:33], v[32:33], v[36:37]
	v_fma_f64 v[36:37], s[10:11], v[74:75], v[40:41]
	v_add_f64 v[134:135], v[26:27], v[134:135]
	v_mul_f64 v[144:145], v[140:141], s[28:29]
	v_fma_f64 v[150:151], v[110:111], s[18:19], -v[148:149]
	v_fma_f64 v[40:41], v[74:75], s[10:11], -v[40:41]
	v_add_f64 v[42:43], v[42:43], v[124:125]
	v_fmac_f64_e32 v[148:149], s[18:19], v[110:111]
	v_add_f64 v[130:131], v[130:131], v[134:135]
	v_mul_f64 v[136:137], v[122:123], s[8:9]
	v_fma_f64 v[146:147], v[108:109], s[14:15], -v[144:145]
	v_add_f64 v[150:151], v[24:25], v[150:151]
	v_add_f64 v[42:43], v[40:41], v[42:43]
	v_fmac_f64_e32 v[144:145], s[14:15], v[108:109]
	v_add_f64 v[40:41], v[24:25], v[148:149]
	v_add_f64 v[126:127], v[126:127], v[130:131]
	v_mul_f64 v[130:131], v[120:121], s[26:27]
	v_fma_f64 v[138:139], v[106:107], s[0:1], -v[136:137]
	v_add_f64 v[146:147], v[146:147], v[150:151]
	v_fmac_f64_e32 v[136:137], s[0:1], v[106:107]
	v_add_f64 v[40:41], v[144:145], v[40:41]
	v_mul_f64 v[144:145], v[116:117], s[16:17]
	v_add_f64 v[38:39], v[38:39], v[126:127]
	v_mul_f64 v[126:127], v[118:119], s[30:31]
	v_fma_f64 v[134:135], v[104:105], s[22:23], -v[130:131]
	v_add_f64 v[138:139], v[138:139], v[146:147]
	v_add_f64 v[40:41], v[136:137], v[40:41]
	v_mul_f64 v[136:137], v[114:115], s[34:35]
	v_fma_f64 v[146:147], s[14:15], v[96:97], v[144:145]
	v_fma_f64 v[144:145], v[96:97], s[14:15], -v[144:145]
	v_add_f64 v[38:39], v[36:37], v[38:39]
	v_fma_f64 v[36:37], v[98:99], s[10:11], -v[126:127]
	v_add_f64 v[134:135], v[134:135], v[138:139]
	v_fmac_f64_e32 v[130:131], s[22:23], v[104:105]
	v_mul_f64 v[132:133], v[102:103], s[30:31]
	v_fma_f64 v[138:139], s[22:23], v[94:95], v[136:137]
	v_fma_f64 v[136:137], v[94:95], s[22:23], -v[136:137]
	v_add_f64 v[144:145], v[26:27], v[144:145]
	v_add_f64 v[36:37], v[36:37], v[134:135]
	v_fmac_f64_e32 v[126:127], s[10:11], v[98:99]
	v_add_f64 v[40:41], v[130:131], v[40:41]
	v_mul_f64 v[130:131], v[100:101], s[8:9]
	v_fma_f64 v[134:135], s[10:11], v[92:93], v[132:133]
	v_fma_f64 v[132:133], v[92:93], s[10:11], -v[132:133]
	v_add_f64 v[136:137], v[136:137], v[144:145]
	v_add_f64 v[40:41], v[126:127], v[40:41]
	v_mul_f64 v[128:129], v[112:113], s[20:21]
	v_fma_f64 v[126:127], s[0:1], v[86:87], v[130:131]
	v_mul_f64 v[156:157], v[142:143], s[16:17]
	v_fma_f64 v[130:131], v[86:87], s[0:1], -v[130:131]
	v_add_f64 v[132:133], v[132:133], v[136:137]
	v_fma_f64 v[124:125], s[18:19], v[74:75], v[128:129]
	v_add_f64 v[146:147], v[26:27], v[146:147]
	v_mul_f64 v[152:153], v[140:141], s[34:35]
	v_fma_f64 v[158:159], v[110:111], s[14:15], -v[156:157]
	v_fma_f64 v[128:129], v[74:75], s[18:19], -v[128:129]
	v_add_f64 v[130:131], v[130:131], v[132:133]
	v_fmac_f64_e32 v[156:157], s[14:15], v[110:111]
	v_add_f64 v[138:139], v[138:139], v[146:147]
	v_mul_f64 v[148:149], v[122:123], s[30:31]
	v_fma_f64 v[154:155], v[108:109], s[22:23], -v[152:153]
	v_add_f64 v[158:159], v[24:25], v[158:159]
	v_add_f64 v[130:131], v[128:129], v[130:131]
	v_fmac_f64_e32 v[152:153], s[22:23], v[108:109]
	v_add_f64 v[128:129], v[24:25], v[156:157]
	v_add_f64 v[134:135], v[134:135], v[138:139]
	v_mul_f64 v[138:139], v[120:121], s[8:9]
	v_fma_f64 v[150:151], v[106:107], s[10:11], -v[148:149]
	v_add_f64 v[154:155], v[154:155], v[158:159]
	v_fmac_f64_e32 v[148:149], s[10:11], v[106:107]
	v_add_f64 v[128:129], v[152:153], v[128:129]
	v_mul_f64 v[152:153], v[116:117], s[12:13]
	v_add_f64 v[126:127], v[126:127], v[134:135]
	v_mul_f64 v[134:135], v[118:119], s[20:21]
	v_fma_f64 v[146:147], v[104:105], s[0:1], -v[138:139]
	v_add_f64 v[150:151], v[150:151], v[154:155]
	v_add_f64 v[128:129], v[148:149], v[128:129]
	v_mul_f64 v[148:149], v[114:115], s[20:21]
	v_fma_f64 v[154:155], s[10:11], v[96:97], v[152:153]
	v_fma_f64 v[152:153], v[96:97], s[10:11], -v[152:153]
	v_add_f64 v[126:127], v[124:125], v[126:127]
	v_fma_f64 v[124:125], v[98:99], s[18:19], -v[134:135]
	v_add_f64 v[146:147], v[146:147], v[150:151]
	v_fmac_f64_e32 v[138:139], s[0:1], v[104:105]
	v_mul_f64 v[144:145], v[102:103], s[34:35]
	v_fma_f64 v[150:151], s[18:19], v[94:95], v[148:149]
	v_fma_f64 v[148:149], v[94:95], s[18:19], -v[148:149]
	v_add_f64 v[152:153], v[26:27], v[152:153]
	v_add_f64 v[124:125], v[124:125], v[146:147]
	v_fmac_f64_e32 v[134:135], s[18:19], v[98:99]
	v_add_f64 v[128:129], v[138:139], v[128:129]
	v_mul_f64 v[138:139], v[100:101], s[28:29]
	v_fma_f64 v[146:147], s[22:23], v[92:93], v[144:145]
	v_fma_f64 v[144:145], v[92:93], s[22:23], -v[144:145]
	v_add_f64 v[148:149], v[148:149], v[152:153]
	v_add_f64 v[128:129], v[134:135], v[128:129]
	v_mul_f64 v[136:137], v[112:113], s[24:25]
	v_fma_f64 v[134:135], s[14:15], v[86:87], v[138:139]
	v_mul_f64 v[172:173], v[142:143], s[12:13]
	v_fma_f64 v[138:139], v[86:87], s[14:15], -v[138:139]
	v_add_f64 v[144:145], v[144:145], v[148:149]
	v_fma_f64 v[132:133], s[0:1], v[74:75], v[136:137]
	v_add_f64 v[154:155], v[26:27], v[154:155]
	v_mul_f64 v[164:165], v[140:141], s[20:21]
	v_fma_f64 v[174:175], v[110:111], s[10:11], -v[172:173]
	v_fma_f64 v[136:137], v[74:75], s[0:1], -v[136:137]
	v_add_f64 v[138:139], v[138:139], v[144:145]
	v_fmac_f64_e32 v[172:173], s[10:11], v[110:111]
	v_add_f64 v[150:151], v[150:151], v[154:155]
	v_mul_f64 v[156:157], v[122:123], s[34:35]
	v_fma_f64 v[166:167], v[108:109], s[18:19], -v[164:165]
	v_add_f64 v[138:139], v[136:137], v[138:139]
	v_fmac_f64_e32 v[164:165], s[18:19], v[108:109]
	v_add_f64 v[136:137], v[24:25], v[172:173]
	v_add_f64 v[146:147], v[146:147], v[150:151]
	v_mul_f64 v[150:151], v[120:121], s[28:29]
	v_fma_f64 v[158:159], v[106:107], s[22:23], -v[156:157]
	v_fmac_f64_e32 v[156:157], s[22:23], v[106:107]
	v_add_f64 v[136:137], v[164:165], v[136:137]
	v_mul_f64 v[116:117], v[116:117], s[8:9]
	v_add_f64 v[134:135], v[134:135], v[146:147]
	v_mul_f64 v[146:147], v[118:119], s[24:25]
	v_fma_f64 v[154:155], v[104:105], s[14:15], -v[150:151]
	v_add_f64 v[174:175], v[24:25], v[174:175]
	v_fmac_f64_e32 v[150:151], s[14:15], v[104:105]
	v_add_f64 v[136:137], v[156:157], v[136:137]
	v_mul_f64 v[114:115], v[114:115], s[12:13]
	v_fma_f64 v[152:153], s[0:1], v[96:97], v[116:117]
	v_fma_f64 v[96:97], v[96:97], s[0:1], -v[116:117]
	v_add_f64 v[134:135], v[132:133], v[134:135]
	v_fma_f64 v[132:133], v[98:99], s[0:1], -v[146:147]
	v_add_f64 v[166:167], v[166:167], v[174:175]
	v_fmac_f64_e32 v[146:147], s[0:1], v[98:99]
	v_add_f64 v[136:137], v[150:151], v[136:137]
	v_mul_f64 v[148:149], v[102:103], s[16:17]
	v_fma_f64 v[150:151], s[10:11], v[94:95], v[114:115]
	v_fma_f64 v[94:95], v[94:95], s[10:11], -v[114:115]
	v_add_f64 v[96:97], v[26:27], v[96:97]
	v_add_f64 v[158:159], v[158:159], v[166:167]
	;; [unrolled: 1-line block ×3, first 2 shown]
	v_mul_f64 v[146:147], v[100:101], s[20:21]
	v_fma_f64 v[102:103], s[14:15], v[92:93], v[148:149]
	v_fma_f64 v[92:93], v[92:93], s[14:15], -v[148:149]
	v_add_f64 v[94:95], v[94:95], v[96:97]
	v_add_f64 v[154:155], v[154:155], v[158:159]
	v_mul_f64 v[112:113], v[112:113], s[26:27]
	v_fma_f64 v[100:101], s[18:19], v[86:87], v[146:147]
	v_mul_f64 v[142:143], v[142:143], s[8:9]
	v_fma_f64 v[86:87], v[86:87], s[18:19], -v[146:147]
	v_add_f64 v[92:93], v[92:93], v[94:95]
	v_add_f64 v[132:133], v[132:133], v[154:155]
	v_fma_f64 v[144:145], s[22:23], v[74:75], v[112:113]
	v_fma_f64 v[154:155], v[110:111], s[0:1], -v[142:143]
	v_fma_f64 v[74:75], v[74:75], s[22:23], -v[112:113]
	v_add_f64 v[86:87], v[86:87], v[92:93]
	v_fmac_f64_e32 v[142:143], s[0:1], v[110:111]
	v_add_f64 v[152:153], v[26:27], v[152:153]
	v_add_f64 v[154:155], v[24:25], v[154:155]
	;; [unrolled: 1-line block ×15, first 2 shown]
	v_mul_f64 v[140:141], v[140:141], s[12:13]
	v_add_f64 v[26:27], v[26:27], v[48:49]
	v_add_f64 v[24:25], v[24:25], v[54:55]
	;; [unrolled: 1-line block ×3, first 2 shown]
	v_mul_f64 v[122:123], v[122:123], s[16:17]
	v_fma_f64 v[152:153], v[108:109], s[10:11], -v[140:141]
	v_fmac_f64_e32 v[140:141], s[10:11], v[108:109]
	v_add_f64 v[26:27], v[26:27], v[60:61]
	v_add_f64 v[24:25], v[24:25], v[46:47]
	v_accvgpr_read_b32 v44, a76
	v_add_f64 v[100:101], v[100:101], v[102:103]
	v_mul_f64 v[120:121], v[120:121], s[20:21]
	v_fma_f64 v[150:151], v[106:107], s[14:15], -v[122:123]
	v_add_f64 v[152:153], v[152:153], v[154:155]
	v_fmac_f64_e32 v[122:123], s[14:15], v[106:107]
	v_add_f64 v[74:75], v[140:141], v[74:75]
	v_add_f64 v[26:27], v[26:27], v[68:69]
	v_add_f64 v[24:25], v[24:25], v[50:51]
	v_mul_u32_u24_e32 v44, 0x42, v44
	v_accvgpr_read_b32 v45, a77
	v_add_f64 v[102:103], v[144:145], v[100:101]
	v_mul_f64 v[118:119], v[118:119], s[26:27]
	v_fma_f64 v[144:145], v[104:105], s[18:19], -v[120:121]
	v_add_f64 v[150:151], v[150:151], v[152:153]
	v_fmac_f64_e32 v[120:121], s[18:19], v[104:105]
	v_add_f64 v[74:75], v[122:123], v[74:75]
	v_add_f64 v[26:27], v[26:27], v[78:79]
	;; [unrolled: 1-line block ×3, first 2 shown]
	v_add_u32_sdwa v44, v44, v45 dst_sel:DWORD dst_unused:UNUSED_PAD src0_sel:DWORD src1_sel:BYTE_0
	v_accvgpr_read_b32 v45, a43
	v_fma_f64 v[100:101], v[98:99], s[22:23], -v[118:119]
	v_add_f64 v[144:145], v[144:145], v[150:151]
	v_fmac_f64_e32 v[118:119], s[22:23], v[98:99]
	v_add_f64 v[74:75], v[120:121], v[74:75]
	v_add_f64 v[26:27], v[26:27], v[88:89]
	v_add_f64 v[24:25], v[24:25], v[72:73]
	v_lshl_add_u32 v44, v44, 4, v45
	v_add_f64 v[100:101], v[100:101], v[144:145]
	v_add_f64 v[92:93], v[118:119], v[74:75]
	ds_write_b128 v44, v[24:27]
	ds_write_b128 v44, v[92:95] offset:96
	ds_write_b128 v44, v[136:139] offset:192
	;; [unrolled: 1-line block ×10, first 2 shown]
.LBB0_9:
	s_or_b64 exec, exec, s[36:37]
	s_waitcnt lgkmcnt(0)
	s_barrier
	ds_read_b128 v[24:27], v83 offset:9504
	ds_read_b128 v[28:31], v83
	ds_read_b128 v[32:35], v83 offset:1056
	ds_read_b128 v[36:39], v83 offset:10560
	;; [unrolled: 1-line block ×8, first 2 shown]
	s_waitcnt lgkmcnt(9)
	v_mul_f64 v[70:71], v[162:163], v[26:27]
	v_fmac_f64_e32 v[70:71], v[160:161], v[24:25]
	v_mul_f64 v[24:25], v[162:163], v[24:25]
	v_fma_f64 v[72:73], v[160:161], v[26:27], -v[24:25]
	s_waitcnt lgkmcnt(6)
	v_mul_f64 v[24:25], v[162:163], v[36:37]
	s_waitcnt lgkmcnt(5)
	v_mul_f64 v[78:79], v[170:171], v[42:43]
	v_mul_f64 v[74:75], v[162:163], v[38:39]
	v_fma_f64 v[76:77], v[160:161], v[38:39], -v[24:25]
	v_fmac_f64_e32 v[78:79], v[168:169], v[40:41]
	v_mul_f64 v[24:25], v[170:171], v[40:41]
	s_waitcnt lgkmcnt(2)
	v_mul_f64 v[40:41], v[178:179], v[58:59]
	v_fmac_f64_e32 v[74:75], v[160:161], v[36:37]
	v_fma_f64 v[84:85], v[168:169], v[42:43], -v[24:25]
	ds_read_b128 v[24:27], v83 offset:4224
	ds_read_b128 v[36:39], v83 offset:5280
	v_mul_f64 v[86:87], v[178:179], v[60:61]
	v_fma_f64 v[88:89], v[176:177], v[60:61], -v[40:41]
	ds_read_b128 v[40:43], v83 offset:14784
	v_fmac_f64_e32 v[86:87], v[176:177], v[58:59]
	s_waitcnt lgkmcnt(4)
	v_mul_f64 v[58:59], v[182:183], v[62:63]
	v_fma_f64 v[92:93], v[180:181], v[64:65], -v[58:59]
	ds_read_b128 v[58:61], v83 offset:15840
	s_waitcnt lgkmcnt(1)
	v_mul_f64 v[94:95], v[186:187], v[42:43]
	v_fmac_f64_e32 v[94:95], v[184:185], v[40:41]
	v_mul_f64 v[40:41], v[186:187], v[40:41]
	v_fma_f64 v[96:97], v[184:185], v[42:43], -v[40:41]
	s_waitcnt lgkmcnt(0)
	v_mul_f64 v[98:99], v[190:191], v[60:61]
	ds_read_b128 v[40:43], v83 offset:16896
	v_fmac_f64_e32 v[98:99], v[188:189], v[58:59]
	v_mul_f64 v[58:59], v[190:191], v[58:59]
	v_fma_f64 v[100:101], v[188:189], v[60:61], -v[58:59]
	ds_read_b128 v[58:61], v83 offset:17952
	s_waitcnt lgkmcnt(1)
	v_mul_f64 v[102:103], v[194:195], v[42:43]
	v_mul_f64 v[90:91], v[182:183], v[64:65]
	v_fmac_f64_e32 v[102:103], v[192:193], v[40:41]
	v_mul_f64 v[40:41], v[194:195], v[40:41]
	v_fmac_f64_e32 v[90:91], v[180:181], v[62:63]
	v_fma_f64 v[104:105], v[192:193], v[42:43], -v[40:41]
	s_waitcnt lgkmcnt(0)
	v_mul_f64 v[106:107], v[198:199], v[60:61]
	v_mul_f64 v[40:41], v[198:199], v[58:59]
	v_add_f64 v[62:63], v[28:29], -v[70:71]
	v_add_f64 v[64:65], v[30:31], -v[72:73]
	v_fmac_f64_e32 v[106:107], v[196:197], v[58:59]
	v_fma_f64 v[108:109], v[196:197], v[60:61], -v[40:41]
	ds_read_b128 v[40:43], v83 offset:6336
	ds_read_b128 v[58:61], v83 offset:7392
	v_fma_f64 v[28:29], v[28:29], 2.0, -v[62:63]
	v_fma_f64 v[30:31], v[30:31], 2.0, -v[64:65]
	v_add_f64 v[70:71], v[32:33], -v[74:75]
	v_add_f64 v[72:73], v[34:35], -v[76:77]
	v_add_f64 v[74:75], v[44:45], -v[78:79]
	v_add_f64 v[76:77], v[46:47], -v[84:85]
	v_fma_f64 v[32:33], v[32:33], 2.0, -v[70:71]
	v_fma_f64 v[34:35], v[34:35], 2.0, -v[72:73]
	;; [unrolled: 1-line block ×4, first 2 shown]
	v_add_f64 v[84:85], v[54:55], -v[86:87]
	v_add_f64 v[86:87], v[56:57], -v[88:89]
	s_waitcnt lgkmcnt(0)
	s_barrier
	ds_write_b128 v83, v[28:31]
	ds_write_b128 v83, v[62:65] offset:1056
	ds_write_b128 v83, v[32:35] offset:2112
	;; [unrolled: 1-line block ×3, first 2 shown]
	v_accvgpr_read_b32 v28, a9
	v_fma_f64 v[54:55], v[54:55], 2.0, -v[84:85]
	v_fma_f64 v[56:57], v[56:57], 2.0, -v[86:87]
	v_add_f64 v[88:89], v[24:25], -v[90:91]
	v_add_f64 v[90:91], v[26:27], -v[92:93]
	ds_write_b128 v28, v[44:47] offset:4224
	ds_write_b128 v28, v[74:77] offset:5280
	v_accvgpr_read_b32 v28, a118
	v_fma_f64 v[24:25], v[24:25], 2.0, -v[88:89]
	v_fma_f64 v[26:27], v[26:27], 2.0, -v[90:91]
	v_add_f64 v[92:93], v[36:37], -v[94:95]
	v_add_f64 v[94:95], v[38:39], -v[96:97]
	ds_write_b128 v28, v[54:57] offset:6336
	ds_write_b128 v28, v[84:87] offset:7392
	;; [unrolled: 7-line block ×5, first 2 shown]
	v_accvgpr_read_b32 v24, a155
	v_fma_f64 v[66:67], v[66:67], 2.0, -v[104:105]
	v_fma_f64 v[68:69], v[68:69], 2.0, -v[106:107]
	ds_write_b128 v24, v[58:61] offset:14784
	ds_write_b128 v24, v[100:103] offset:15840
	v_accvgpr_read_b32 v24, a156
	ds_write_b128 v24, v[66:69] offset:16896
	ds_write_b128 v24, v[104:107] offset:17952
	s_waitcnt lgkmcnt(0)
	s_barrier
	ds_read_b128 v[24:27], v83
	ds_read_b128 v[28:31], v83 offset:1056
	ds_read_b128 v[54:57], v83 offset:6336
	;; [unrolled: 1-line block ×17, first 2 shown]
	s_waitcnt lgkmcnt(14)
	v_mul_f64 v[78:79], v[206:207], v[56:57]
	v_fmac_f64_e32 v[78:79], v[204:205], v[54:55]
	v_mul_f64 v[54:55], v[206:207], v[54:55]
	v_fma_f64 v[108:109], v[204:205], v[56:57], -v[54:55]
	s_waitcnt lgkmcnt(13)
	v_mul_f64 v[110:111], v[202:203], v[64:65]
	v_mul_f64 v[54:55], v[202:203], v[62:63]
	v_fmac_f64_e32 v[110:111], v[200:201], v[62:63]
	v_fma_f64 v[62:63], v[200:201], v[64:65], -v[54:55]
	v_mul_f64 v[54:55], v[214:215], v[58:59]
	v_fma_f64 v[114:115], v[212:213], v[60:61], -v[54:55]
	s_waitcnt lgkmcnt(12)
	v_mul_f64 v[54:55], v[210:211], v[66:67]
	v_mul_f64 v[116:117], v[210:211], v[68:69]
	v_fma_f64 v[68:69], v[208:209], v[68:69], -v[54:55]
	s_waitcnt lgkmcnt(9)
	v_mul_f64 v[54:55], v[206:207], v[70:71]
	v_fma_f64 v[120:121], v[204:205], v[72:73], -v[54:55]
	s_waitcnt lgkmcnt(7)
	v_mul_f64 v[122:123], v[202:203], v[86:87]
	v_mul_f64 v[54:55], v[202:203], v[84:85]
	v_fmac_f64_e32 v[122:123], v[200:201], v[84:85]
	v_fma_f64 v[84:85], v[200:201], v[86:87], -v[54:55]
	v_mul_f64 v[54:55], v[214:215], v[74:75]
	v_fma_f64 v[126:127], v[212:213], v[76:77], -v[54:55]
	s_waitcnt lgkmcnt(6)
	v_mul_f64 v[54:55], v[210:211], v[88:89]
	v_mul_f64 v[128:129], v[210:211], v[90:91]
	v_fma_f64 v[90:91], v[208:209], v[90:91], -v[54:55]
	s_waitcnt lgkmcnt(3)
	v_mul_f64 v[54:55], v[222:223], v[92:93]
	v_accvgpr_read_b32 v82, a42
	v_fma_f64 v[132:133], v[220:221], v[94:95], -v[54:55]
	s_waitcnt lgkmcnt(1)
	v_mul_f64 v[134:135], v[218:219], v[102:103]
	v_mul_f64 v[54:55], v[218:219], v[100:101]
	v_mad_u64_u32 v[50:51], s[0:1], s6, v82, 0
	v_fmac_f64_e32 v[134:135], v[216:217], v[100:101]
	v_fma_f64 v[100:101], v[216:217], v[102:103], -v[54:55]
	v_mul_f64 v[54:55], v[230:231], v[96:97]
	v_fma_f64 v[138:139], v[228:229], v[98:99], -v[54:55]
	s_waitcnt lgkmcnt(0)
	v_mul_f64 v[54:55], v[226:227], v[104:105]
	v_add_f64 v[56:57], v[78:79], v[110:111]
	s_mov_b32 s0, 0xe8584caa
	v_mov_b32_e32 v48, s2
	v_mov_b32_e32 v49, s3
	v_mul_f64 v[112:113], v[214:215], v[60:61]
	v_mul_f64 v[140:141], v[226:227], v[106:107]
	v_fma_f64 v[106:107], v[224:225], v[106:107], -v[54:55]
	v_add_f64 v[54:55], v[24:25], v[78:79]
	v_fmac_f64_e32 v[24:25], -0.5, v[56:57]
	v_add_f64 v[56:57], v[108:109], -v[62:63]
	s_mov_b32 s1, 0xbfebb67a
	s_mov_b32 s3, 0x3febb67a
	;; [unrolled: 1-line block ×3, first 2 shown]
	v_fmac_f64_e32 v[112:113], v[212:213], v[58:59]
	v_fmac_f64_e32 v[116:117], v[208:209], v[66:67]
	v_fma_f64 v[58:59], s[0:1], v[56:57], v[24:25]
	v_fmac_f64_e32 v[24:25], s[2:3], v[56:57]
	v_add_f64 v[56:57], v[26:27], v[108:109]
	v_add_f64 v[60:61], v[108:109], v[62:63]
	;; [unrolled: 1-line block ×3, first 2 shown]
	v_fmac_f64_e32 v[26:27], -0.5, v[60:61]
	v_add_f64 v[62:63], v[78:79], -v[110:111]
	v_add_f64 v[64:65], v[112:113], v[116:117]
	v_fma_f64 v[60:61], s[2:3], v[62:63], v[26:27]
	v_fmac_f64_e32 v[26:27], s[0:1], v[62:63]
	v_add_f64 v[62:63], v[28:29], v[112:113]
	v_fmac_f64_e32 v[28:29], -0.5, v[64:65]
	v_add_f64 v[64:65], v[114:115], -v[68:69]
	v_mul_f64 v[118:119], v[206:207], v[72:73]
	v_fma_f64 v[66:67], s[0:1], v[64:65], v[28:29]
	v_fmac_f64_e32 v[28:29], s[2:3], v[64:65]
	v_add_f64 v[64:65], v[30:31], v[114:115]
	v_fmac_f64_e32 v[118:119], v[204:205], v[70:71]
	v_add_f64 v[64:65], v[64:65], v[68:69]
	v_add_f64 v[68:69], v[114:115], v[68:69]
	v_fmac_f64_e32 v[30:31], -0.5, v[68:69]
	v_add_f64 v[70:71], v[112:113], -v[116:117]
	v_add_f64 v[72:73], v[118:119], v[122:123]
	v_mul_f64 v[124:125], v[214:215], v[76:77]
	v_fma_f64 v[68:69], s[2:3], v[70:71], v[30:31]
	v_fmac_f64_e32 v[30:31], s[0:1], v[70:71]
	v_add_f64 v[70:71], v[32:33], v[118:119]
	v_fmac_f64_e32 v[32:33], -0.5, v[72:73]
	v_add_f64 v[72:73], v[120:121], -v[84:85]
	v_add_f64 v[76:77], v[120:121], v[84:85]
	v_fmac_f64_e32 v[124:125], v[212:213], v[74:75]
	v_fma_f64 v[74:75], s[0:1], v[72:73], v[32:33]
	v_fmac_f64_e32 v[32:33], s[2:3], v[72:73]
	v_add_f64 v[72:73], v[34:35], v[120:121]
	v_fmac_f64_e32 v[34:35], -0.5, v[76:77]
	v_add_f64 v[78:79], v[118:119], -v[122:123]
	v_fmac_f64_e32 v[128:129], v[208:209], v[88:89]
	v_fma_f64 v[76:77], s[2:3], v[78:79], v[34:35]
	v_fmac_f64_e32 v[34:35], s[0:1], v[78:79]
	v_add_f64 v[78:79], v[36:37], v[124:125]
	v_add_f64 v[72:73], v[72:73], v[84:85]
	;; [unrolled: 1-line block ×4, first 2 shown]
	v_fmac_f64_e32 v[36:37], -0.5, v[78:79]
	v_add_f64 v[78:79], v[126:127], -v[90:91]
	v_fma_f64 v[88:89], s[0:1], v[78:79], v[36:37]
	v_fmac_f64_e32 v[36:37], s[2:3], v[78:79]
	v_add_f64 v[78:79], v[38:39], v[126:127]
	v_mul_f64 v[130:131], v[222:223], v[94:95]
	v_add_f64 v[86:87], v[78:79], v[90:91]
	v_add_f64 v[78:79], v[126:127], v[90:91]
	v_fmac_f64_e32 v[130:131], v[220:221], v[92:93]
	v_fmac_f64_e32 v[38:39], -0.5, v[78:79]
	v_add_f64 v[78:79], v[124:125], -v[128:129]
	v_fma_f64 v[90:91], s[2:3], v[78:79], v[38:39]
	v_fmac_f64_e32 v[38:39], s[0:1], v[78:79]
	v_add_f64 v[78:79], v[40:41], v[130:131]
	v_add_f64 v[92:93], v[78:79], v[134:135]
	;; [unrolled: 1-line block ×3, first 2 shown]
	v_mul_f64 v[136:137], v[230:231], v[98:99]
	v_fmac_f64_e32 v[40:41], -0.5, v[78:79]
	v_add_f64 v[78:79], v[132:133], -v[100:101]
	v_fmac_f64_e32 v[136:137], v[228:229], v[96:97]
	v_fma_f64 v[96:97], s[0:1], v[78:79], v[40:41]
	v_fmac_f64_e32 v[40:41], s[2:3], v[78:79]
	v_add_f64 v[78:79], v[42:43], v[132:133]
	v_add_f64 v[94:95], v[78:79], v[100:101]
	v_add_f64 v[78:79], v[132:133], v[100:101]
	v_fmac_f64_e32 v[42:43], -0.5, v[78:79]
	v_add_f64 v[78:79], v[130:131], -v[134:135]
	v_fmac_f64_e32 v[140:141], v[224:225], v[104:105]
	v_fma_f64 v[98:99], s[2:3], v[78:79], v[42:43]
	v_fmac_f64_e32 v[42:43], s[0:1], v[78:79]
	v_add_f64 v[78:79], v[44:45], v[136:137]
	v_add_f64 v[100:101], v[78:79], v[140:141]
	v_add_f64 v[78:79], v[136:137], v[140:141]
	v_fmac_f64_e32 v[44:45], -0.5, v[78:79]
	v_add_f64 v[78:79], v[138:139], -v[106:107]
	v_fma_f64 v[104:105], s[0:1], v[78:79], v[44:45]
	v_fmac_f64_e32 v[44:45], s[2:3], v[78:79]
	v_add_f64 v[78:79], v[46:47], v[138:139]
	v_add_f64 v[102:103], v[78:79], v[106:107]
	v_add_f64 v[78:79], v[138:139], v[106:107]
	v_fmac_f64_e32 v[46:47], -0.5, v[78:79]
	v_add_f64 v[78:79], v[136:137], -v[140:141]
	v_add_f64 v[54:55], v[54:55], v[110:111]
	v_add_f64 v[62:63], v[62:63], v[116:117]
	v_add_f64 v[70:71], v[70:71], v[122:123]
	v_fma_f64 v[106:107], s[2:3], v[78:79], v[46:47]
	v_fmac_f64_e32 v[46:47], s[0:1], v[78:79]
	s_barrier
	ds_write_b128 v83, v[54:57]
	ds_write_b128 v83, v[58:61] offset:2112
	ds_write_b128 v83, v[24:27] offset:4224
	;; [unrolled: 1-line block ×17, first 2 shown]
	s_waitcnt lgkmcnt(0)
	s_barrier
	ds_read_b128 v[24:27], v83
	ds_read_b128 v[28:31], v83 offset:1056
	ds_read_b128 v[54:57], v83 offset:6336
	;; [unrolled: 1-line block ×17, first 2 shown]
	s_waitcnt lgkmcnt(14)
	v_mul_f64 v[104:105], v[234:235], v[56:57]
	v_fmac_f64_e32 v[104:105], v[232:233], v[54:55]
	v_mul_f64 v[54:55], v[234:235], v[54:55]
	v_fma_f64 v[54:55], v[232:233], v[56:57], -v[54:55]
	s_waitcnt lgkmcnt(13)
	v_mul_f64 v[56:57], v[238:239], v[64:65]
	v_fmac_f64_e32 v[56:57], v[236:237], v[62:63]
	v_mul_f64 v[62:63], v[238:239], v[62:63]
	v_fma_f64 v[62:63], v[236:237], v[64:65], -v[62:63]
	v_mul_f64 v[64:65], v[242:243], v[60:61]
	v_fmac_f64_e32 v[64:65], v[240:241], v[58:59]
	v_mul_f64 v[58:59], v[242:243], v[58:59]
	v_fma_f64 v[58:59], v[240:241], v[60:61], -v[58:59]
	s_waitcnt lgkmcnt(12)
	v_mul_f64 v[60:61], v[246:247], v[68:69]
	v_fmac_f64_e32 v[60:61], v[244:245], v[66:67]
	v_mul_f64 v[66:67], v[246:247], v[66:67]
	v_fma_f64 v[66:67], v[244:245], v[68:69], -v[66:67]
	s_waitcnt lgkmcnt(9)
	;; [unrolled: 5-line block ×3, first 2 shown]
	v_mul_f64 v[72:73], v[254:255], v[80:81]
	v_fmac_f64_e32 v[72:73], v[252:253], v[78:79]
	v_mul_f64 v[78:79], v[254:255], v[78:79]
	v_fma_f64 v[78:79], v[252:253], v[80:81], -v[78:79]
	v_mul_f64 v[80:81], v[2:3], v[76:77]
	v_mul_f64 v[2:3], v[2:3], v[74:75]
	v_fmac_f64_e32 v[80:81], v[0:1], v[74:75]
	v_fma_f64 v[74:75], v[0:1], v[76:77], -v[2:3]
	s_waitcnt lgkmcnt(6)
	v_mul_f64 v[76:77], v[6:7], v[86:87]
	v_mul_f64 v[0:1], v[6:7], v[84:85]
	v_fmac_f64_e32 v[76:77], v[4:5], v[84:85]
	v_fma_f64 v[84:85], v[4:5], v[86:87], -v[0:1]
	s_waitcnt lgkmcnt(3)
	;; [unrolled: 5-line block ×3, first 2 shown]
	v_mul_f64 v[90:91], v[14:15], v[98:99]
	v_mul_f64 v[0:1], v[14:15], v[96:97]
	v_fmac_f64_e32 v[90:91], v[12:13], v[96:97]
	v_fma_f64 v[96:97], v[12:13], v[98:99], -v[0:1]
	v_mul_f64 v[98:99], v[18:19], v[94:95]
	v_mul_f64 v[0:1], v[18:19], v[92:93]
	v_fmac_f64_e32 v[98:99], v[16:17], v[92:93]
	v_fma_f64 v[92:93], v[16:17], v[94:95], -v[0:1]
	s_waitcnt lgkmcnt(0)
	v_mul_f64 v[94:95], v[22:23], v[102:103]
	v_mul_f64 v[0:1], v[22:23], v[100:101]
	v_add_f64 v[2:3], v[104:105], v[56:57]
	v_fmac_f64_e32 v[94:95], v[20:21], v[100:101]
	v_fma_f64 v[100:101], v[20:21], v[102:103], -v[0:1]
	v_add_f64 v[0:1], v[24:25], v[104:105]
	v_fmac_f64_e32 v[24:25], -0.5, v[2:3]
	v_add_f64 v[2:3], v[54:55], -v[62:63]
	v_add_f64 v[6:7], v[54:55], v[62:63]
	v_fma_f64 v[4:5], s[0:1], v[2:3], v[24:25]
	v_fmac_f64_e32 v[24:25], s[2:3], v[2:3]
	v_add_f64 v[2:3], v[26:27], v[54:55]
	v_fmac_f64_e32 v[26:27], -0.5, v[6:7]
	v_add_f64 v[8:9], v[104:105], -v[56:57]
	v_add_f64 v[10:11], v[64:65], v[60:61]
	v_fma_f64 v[6:7], s[2:3], v[8:9], v[26:27]
	v_fmac_f64_e32 v[26:27], s[0:1], v[8:9]
	;; [unrolled: 6-line block ×4, first 2 shown]
	v_add_f64 v[16:17], v[32:33], v[68:69]
	v_fmac_f64_e32 v[32:33], -0.5, v[18:19]
	v_add_f64 v[18:19], v[70:71], -v[78:79]
	v_add_f64 v[22:23], v[70:71], v[78:79]
	v_add_f64 v[0:1], v[0:1], v[56:57]
	v_fma_f64 v[20:21], s[0:1], v[18:19], v[32:33]
	v_fmac_f64_e32 v[32:33], s[2:3], v[18:19]
	v_add_f64 v[18:19], v[34:35], v[70:71]
	v_fmac_f64_e32 v[34:35], -0.5, v[22:23]
	v_add_f64 v[54:55], v[68:69], -v[72:73]
	v_add_f64 v[56:57], v[80:81], v[76:77]
	v_add_f64 v[8:9], v[8:9], v[60:61]
	v_fma_f64 v[22:23], s[2:3], v[54:55], v[34:35]
	v_fmac_f64_e32 v[34:35], s[0:1], v[54:55]
	;; [unrolled: 7-line block ×3, first 2 shown]
	v_add_f64 v[56:57], v[38:39], v[74:75]
	v_fmac_f64_e32 v[38:39], -0.5, v[60:61]
	v_add_f64 v[62:63], v[80:81], -v[76:77]
	v_add_f64 v[64:65], v[86:87], v[90:91]
	v_fma_f64 v[60:61], s[2:3], v[62:63], v[38:39]
	v_fmac_f64_e32 v[38:39], s[0:1], v[62:63]
	v_add_f64 v[62:63], v[40:41], v[86:87]
	v_fmac_f64_e32 v[40:41], -0.5, v[64:65]
	v_add_f64 v[64:65], v[88:89], -v[96:97]
	v_add_f64 v[68:69], v[88:89], v[96:97]
	v_add_f64 v[10:11], v[10:11], v[66:67]
	;; [unrolled: 1-line block ×4, first 2 shown]
	v_fma_f64 v[66:67], s[0:1], v[64:65], v[40:41]
	v_fmac_f64_e32 v[40:41], s[2:3], v[64:65]
	v_add_f64 v[64:65], v[42:43], v[88:89]
	v_fmac_f64_e32 v[42:43], -0.5, v[68:69]
	v_add_f64 v[70:71], v[86:87], -v[90:91]
	v_add_f64 v[72:73], v[98:99], v[94:95]
	ds_write_b128 v83, v[0:3]
	ds_write_b128 v83, v[4:7] offset:6336
	ds_write_b128 v83, v[24:27] offset:12672
	;; [unrolled: 1-line block ×6, first 2 shown]
	v_accvgpr_read_b32 v0, a159
	v_add_f64 v[54:55], v[54:55], v[76:77]
	v_add_f64 v[56:57], v[56:57], v[84:85]
	v_fma_f64 v[68:69], s[2:3], v[70:71], v[42:43]
	v_fmac_f64_e32 v[42:43], s[0:1], v[70:71]
	v_add_f64 v[70:71], v[44:45], v[98:99]
	v_fmac_f64_e32 v[44:45], -0.5, v[72:73]
	v_add_f64 v[72:73], v[92:93], -v[100:101]
	v_add_f64 v[76:77], v[92:93], v[100:101]
	ds_write_b128 v0, v[20:23] offset:6336
	ds_write_b128 v0, v[32:35] offset:12672
	;; [unrolled: 1-line block ×3, first 2 shown]
	v_accvgpr_read_b32 v0, a158
	v_add_f64 v[62:63], v[62:63], v[90:91]
	v_add_f64 v[64:65], v[64:65], v[96:97]
	v_fma_f64 v[74:75], s[0:1], v[72:73], v[44:45]
	v_fmac_f64_e32 v[44:45], s[2:3], v[72:73]
	v_add_f64 v[72:73], v[46:47], v[92:93]
	v_fmac_f64_e32 v[46:47], -0.5, v[76:77]
	v_add_f64 v[78:79], v[98:99], -v[94:95]
	ds_write_b128 v0, v[58:61] offset:6336
	ds_write_b128 v0, v[36:39] offset:12672
	;; [unrolled: 1-line block ×3, first 2 shown]
	v_accvgpr_read_b32 v0, a157
	v_add_f64 v[70:71], v[70:71], v[94:95]
	v_add_f64 v[72:73], v[72:73], v[100:101]
	v_fma_f64 v[76:77], s[2:3], v[78:79], v[46:47]
	ds_write_b128 v0, v[66:69] offset:6336
	ds_write_b128 v0, v[40:43] offset:12672
	;; [unrolled: 1-line block ×3, first 2 shown]
	v_accvgpr_read_b32 v0, a119
	v_fmac_f64_e32 v[46:47], s[0:1], v[78:79]
	ds_write_b128 v0, v[74:77] offset:6336
	ds_write_b128 v0, v[44:47] offset:12672
	s_waitcnt lgkmcnt(0)
	s_barrier
	ds_read_b128 v[4:7], v83
	v_mov_b32_e32 v52, v51
	v_accvgpr_read_b32 v10, a10
	v_mad_u64_u32 v[0:1], s[0:1], s7, v82, v[52:53]
	v_accvgpr_read_b32 v12, a12
	v_accvgpr_read_b32 v13, a13
	v_mov_b32_e32 v51, v0
	ds_read_b128 v[0:3], v83 offset:1056
	v_accvgpr_read_b32 v11, a11
	s_waitcnt lgkmcnt(1)
	v_mul_f64 v[8:9], v[12:13], v[6:7]
	v_fmac_f64_e32 v[8:9], v[10:11], v[4:5]
	v_mul_f64 v[4:5], v[12:13], v[4:5]
	s_mov_b32 s0, 0x2b18ff23
	v_fma_f64 v[4:5], v[10:11], v[6:7], -v[4:5]
	v_accvgpr_read_b32 v6, a8
	s_mov_b32 s1, 0x3f4b951e
	v_mad_u64_u32 v[12:13], s[2:3], s4, v6, 0
	v_mul_f64 v[10:11], v[4:5], s[0:1]
	v_mov_b32_e32 v4, v13
	v_mad_u64_u32 v[4:5], s[2:3], s5, v6, v[4:5]
	v_mov_b32_e32 v13, v4
	ds_read_b128 v[4:7], v83 offset:3168
	v_lshl_add_u64 v[14:15], v[50:51], 4, v[48:49]
	v_accvgpr_read_b32 v21, a3
	v_mul_f64 v[8:9], v[8:9], s[0:1]
	v_lshl_add_u64 v[16:17], v[12:13], 4, v[14:15]
	v_accvgpr_read_b32 v20, a2
	global_store_dwordx4 v[16:17], v[8:11], off
	ds_read_b128 v[8:11], v83 offset:2112
	v_accvgpr_read_b32 v19, a1
	v_accvgpr_read_b32 v18, a0
	s_waitcnt lgkmcnt(1)
	v_mul_f64 v[12:13], v[20:21], v[6:7]
	v_fmac_f64_e32 v[12:13], v[18:19], v[4:5]
	v_mul_f64 v[4:5], v[20:21], v[4:5]
	v_fma_f64 v[4:5], v[18:19], v[6:7], -v[4:5]
	v_mul_f64 v[14:15], v[4:5], s[0:1]
	ds_read_b128 v[4:7], v83 offset:6336
	v_mov_b32_e32 v34, 0xc60
	v_mad_u64_u32 v[20:21], s[2:3], s4, v34, v[16:17]
	s_mul_i32 s2, s5, 0xc60
	v_accvgpr_read_b32 v25, a21
	v_mul_f64 v[12:13], v[12:13], s[0:1]
	v_add_u32_e32 v21, s2, v21
	v_accvgpr_read_b32 v24, a20
	global_store_dwordx4 v[20:21], v[12:15], off
	ds_read_b128 v[12:15], v83 offset:7392
	v_accvgpr_read_b32 v23, a19
	v_accvgpr_read_b32 v22, a18
	s_waitcnt lgkmcnt(1)
	v_mul_f64 v[16:17], v[24:25], v[6:7]
	v_fmac_f64_e32 v[16:17], v[22:23], v[4:5]
	v_mul_f64 v[4:5], v[24:25], v[4:5]
	v_fma_f64 v[4:5], v[22:23], v[6:7], -v[4:5]
	v_mul_f64 v[18:19], v[4:5], s[0:1]
	ds_read_b128 v[4:7], v83 offset:9504
	v_mad_u64_u32 v[24:25], s[6:7], s4, v34, v[20:21]
	v_accvgpr_read_b32 v26, a72
	v_mul_f64 v[16:17], v[16:17], s[0:1]
	v_add_u32_e32 v25, s2, v25
	v_accvgpr_read_b32 v28, a74
	v_accvgpr_read_b32 v29, a75
	global_store_dwordx4 v[24:25], v[16:19], off
	ds_read_b128 v[16:19], v83 offset:8448
	v_accvgpr_read_b32 v27, a73
	s_waitcnt lgkmcnt(1)
	v_mul_f64 v[20:21], v[28:29], v[6:7]
	v_fmac_f64_e32 v[20:21], v[26:27], v[4:5]
	v_mul_f64 v[4:5], v[28:29], v[4:5]
	v_fma_f64 v[4:5], v[26:27], v[6:7], -v[4:5]
	v_mul_f64 v[22:23], v[4:5], s[0:1]
	ds_read_b128 v[4:7], v83 offset:12672
	v_mad_u64_u32 v[28:29], s[6:7], s4, v34, v[24:25]
	v_accvgpr_read_b32 v30, a68
	v_mul_f64 v[20:21], v[20:21], s[0:1]
	v_add_u32_e32 v29, s2, v29
	v_accvgpr_read_b32 v32, a70
	v_accvgpr_read_b32 v33, a71
	global_store_dwordx4 v[28:29], v[20:23], off
	ds_read_b128 v[20:23], v83 offset:13728
	;; [unrolled: 16-line block ×3, first 2 shown]
	v_accvgpr_read_b32 v37, a53
	s_waitcnt lgkmcnt(1)
	v_mul_f64 v[28:29], v[38:39], v[6:7]
	v_fmac_f64_e32 v[28:29], v[36:37], v[4:5]
	v_mul_f64 v[4:5], v[38:39], v[4:5]
	v_fma_f64 v[4:5], v[36:37], v[6:7], -v[4:5]
	v_mad_u64_u32 v[32:33], s[6:7], s4, v34, v[32:33]
	v_mul_f64 v[28:29], v[28:29], s[0:1]
	v_mul_f64 v[30:31], v[4:5], s[0:1]
	v_add_u32_e32 v33, s2, v33
	global_store_dwordx4 v[32:33], v[28:31], off
	v_mov_b32_e32 v35, 0xffffc640
	s_mul_i32 s3, s5, 0xffffc640
	v_accvgpr_read_b32 v31, a7
	v_accvgpr_read_b32 v30, a6
	;; [unrolled: 1-line block ×4, first 2 shown]
	v_mul_f64 v[4:5], v[30:31], v[2:3]
	v_fmac_f64_e32 v[4:5], v[28:29], v[0:1]
	v_mul_f64 v[0:1], v[30:31], v[0:1]
	v_fma_f64 v[0:1], v[28:29], v[2:3], -v[0:1]
	v_mul_f64 v[6:7], v[0:1], s[0:1]
	ds_read_b128 v[0:3], v83 offset:4224
	v_mad_u64_u32 v[32:33], s[6:7], s4, v35, v[32:33]
	s_sub_i32 s3, s3, s4
	v_accvgpr_read_b32 v39, a29
	v_mul_f64 v[4:5], v[4:5], s[0:1]
	v_add_u32_e32 v33, s3, v33
	v_accvgpr_read_b32 v38, a28
	global_store_dwordx4 v[32:33], v[4:7], off
	ds_read_b128 v[4:7], v83 offset:5280
	v_accvgpr_read_b32 v37, a27
	v_accvgpr_read_b32 v36, a26
	s_waitcnt lgkmcnt(1)
	v_mul_f64 v[28:29], v[38:39], v[2:3]
	v_fmac_f64_e32 v[28:29], v[36:37], v[0:1]
	v_mul_f64 v[0:1], v[38:39], v[0:1]
	v_fma_f64 v[0:1], v[36:37], v[2:3], -v[0:1]
	v_mad_u64_u32 v[32:33], s[6:7], s4, v34, v[32:33]
	v_mul_f64 v[28:29], v[28:29], s[0:1]
	v_mul_f64 v[30:31], v[0:1], s[0:1]
	v_add_u32_e32 v33, s2, v33
	global_store_dwordx4 v[32:33], v[28:31], off
	v_mad_u64_u32 v[32:33], s[6:7], s4, v34, v[32:33]
	s_nop 0
	v_accvgpr_read_b32 v28, a48
	v_accvgpr_read_b32 v30, a50
	;; [unrolled: 1-line block ×4, first 2 shown]
	v_mul_f64 v[0:1], v[30:31], v[14:15]
	v_mul_f64 v[2:3], v[30:31], v[12:13]
	v_fmac_f64_e32 v[0:1], v[28:29], v[12:13]
	v_fma_f64 v[2:3], v[28:29], v[14:15], -v[2:3]
	ds_read_b128 v[12:15], v83 offset:10560
	v_accvgpr_read_b32 v36, a38
	v_mul_f64 v[0:1], v[0:1], s[0:1]
	v_mul_f64 v[2:3], v[2:3], s[0:1]
	v_add_u32_e32 v33, s2, v33
	v_accvgpr_read_b32 v38, a40
	v_accvgpr_read_b32 v39, a41
	global_store_dwordx4 v[32:33], v[0:3], off
	ds_read_b128 v[0:3], v83 offset:11616
	v_accvgpr_read_b32 v37, a39
	s_waitcnt lgkmcnt(1)
	v_mul_f64 v[28:29], v[38:39], v[14:15]
	v_fmac_f64_e32 v[28:29], v[36:37], v[12:13]
	v_mul_f64 v[12:13], v[38:39], v[12:13]
	v_fma_f64 v[12:13], v[36:37], v[14:15], -v[12:13]
	v_mad_u64_u32 v[32:33], s[6:7], s4, v34, v[32:33]
	v_mul_f64 v[28:29], v[28:29], s[0:1]
	v_mul_f64 v[30:31], v[12:13], s[0:1]
	v_add_u32_e32 v33, s2, v33
	global_store_dwordx4 v[32:33], v[28:31], off
	v_mad_u64_u32 v[32:33], s[6:7], s4, v34, v[32:33]
	s_nop 0
	v_accvgpr_read_b32 v28, a34
	v_accvgpr_read_b32 v30, a36
	;; [unrolled: 1-line block ×4, first 2 shown]
	v_mul_f64 v[12:13], v[30:31], v[22:23]
	v_mul_f64 v[14:15], v[30:31], v[20:21]
	v_fmac_f64_e32 v[12:13], v[28:29], v[20:21]
	v_fma_f64 v[14:15], v[28:29], v[22:23], -v[14:15]
	ds_read_b128 v[20:23], v83 offset:16896
	v_accvgpr_read_b32 v39, a25
	v_mul_f64 v[12:13], v[12:13], s[0:1]
	v_mul_f64 v[14:15], v[14:15], s[0:1]
	v_add_u32_e32 v33, s2, v33
	v_accvgpr_read_b32 v38, a24
	global_store_dwordx4 v[32:33], v[12:15], off
	ds_read_b128 v[12:15], v83 offset:17952
	v_accvgpr_read_b32 v37, a23
	v_accvgpr_read_b32 v36, a22
	s_waitcnt lgkmcnt(1)
	v_mul_f64 v[28:29], v[38:39], v[22:23]
	v_fmac_f64_e32 v[28:29], v[36:37], v[20:21]
	v_mul_f64 v[20:21], v[38:39], v[20:21]
	v_fma_f64 v[20:21], v[36:37], v[22:23], -v[20:21]
	v_mad_u64_u32 v[32:33], s[6:7], s4, v34, v[32:33]
	v_mul_f64 v[28:29], v[28:29], s[0:1]
	v_mul_f64 v[30:31], v[20:21], s[0:1]
	v_add_u32_e32 v33, s2, v33
	global_store_dwordx4 v[32:33], v[28:31], off
	s_nop 1
	v_accvgpr_read_b32 v31, a17
	v_accvgpr_read_b32 v30, a16
	v_accvgpr_read_b32 v29, a15
	v_accvgpr_read_b32 v28, a14
	v_mul_f64 v[20:21], v[30:31], v[10:11]
	v_fmac_f64_e32 v[20:21], v[28:29], v[8:9]
	v_mul_f64 v[8:9], v[30:31], v[8:9]
	v_fma_f64 v[8:9], v[28:29], v[10:11], -v[8:9]
	v_mad_u64_u32 v[28:29], s[6:7], s4, v35, v[32:33]
	v_mul_f64 v[20:21], v[20:21], s[0:1]
	v_mul_f64 v[22:23], v[8:9], s[0:1]
	v_add_u32_e32 v29, s3, v29
	global_store_dwordx4 v[28:29], v[20:23], off
	s_nop 1
	v_accvgpr_read_b32 v20, a30
	v_accvgpr_read_b32 v22, a32
	v_accvgpr_read_b32 v23, a33
	v_accvgpr_read_b32 v21, a31
	;; [unrolled: 14-line block ×3, first 2 shown]
	v_mul_f64 v[4:5], v[10:11], v[18:19]
	v_mul_f64 v[6:7], v[10:11], v[16:17]
	v_fmac_f64_e32 v[4:5], v[8:9], v[16:17]
	v_fma_f64 v[6:7], v[8:9], v[18:19], -v[6:7]
	v_mad_u64_u32 v[8:9], s[6:7], s4, v34, v[20:21]
	v_accvgpr_read_b32 v16, a56
	v_mul_f64 v[4:5], v[4:5], s[0:1]
	v_mul_f64 v[6:7], v[6:7], s[0:1]
	v_add_u32_e32 v9, s2, v9
	v_accvgpr_read_b32 v18, a58
	v_accvgpr_read_b32 v19, a59
	global_store_dwordx4 v[8:9], v[4:7], off
	v_accvgpr_read_b32 v17, a57
	v_mad_u64_u32 v[8:9], s[6:7], s4, v34, v[8:9]
	v_mul_f64 v[4:5], v[18:19], v[2:3]
	v_fmac_f64_e32 v[4:5], v[16:17], v[0:1]
	v_mul_f64 v[0:1], v[18:19], v[0:1]
	v_fma_f64 v[0:1], v[16:17], v[2:3], -v[0:1]
	v_mul_f64 v[4:5], v[4:5], s[0:1]
	v_mul_f64 v[6:7], v[0:1], s[0:1]
	v_add_u32_e32 v9, s2, v9
	global_store_dwordx4 v[8:9], v[4:7], off
	s_nop 1
	v_accvgpr_read_b32 v4, a60
	v_accvgpr_read_b32 v6, a62
	;; [unrolled: 1-line block ×4, first 2 shown]
	v_mul_f64 v[0:1], v[6:7], v[26:27]
	v_mul_f64 v[2:3], v[6:7], v[24:25]
	v_fmac_f64_e32 v[0:1], v[4:5], v[24:25]
	v_fma_f64 v[2:3], v[4:5], v[26:27], -v[2:3]
	v_mad_u64_u32 v[4:5], s[6:7], s4, v34, v[8:9]
	v_accvgpr_read_b32 v6, a64
	v_mul_f64 v[0:1], v[0:1], s[0:1]
	v_mul_f64 v[2:3], v[2:3], s[0:1]
	v_add_u32_e32 v5, s2, v5
	v_accvgpr_read_b32 v8, a66
	v_accvgpr_read_b32 v9, a67
	global_store_dwordx4 v[4:5], v[0:3], off
	v_accvgpr_read_b32 v7, a65
	s_waitcnt lgkmcnt(0)
	v_mul_f64 v[0:1], v[8:9], v[14:15]
	v_mul_f64 v[2:3], v[8:9], v[12:13]
	v_fmac_f64_e32 v[0:1], v[6:7], v[12:13]
	v_fma_f64 v[2:3], v[6:7], v[14:15], -v[2:3]
	v_mul_f64 v[0:1], v[0:1], s[0:1]
	v_mul_f64 v[2:3], v[2:3], s[0:1]
	v_mad_u64_u32 v[4:5], s[0:1], s4, v34, v[4:5]
	v_add_u32_e32 v5, s2, v5
	global_store_dwordx4 v[4:5], v[0:3], off
.LBB0_10:
	s_endpgm
	.section	.rodata,"a",@progbits
	.p2align	6, 0x0
	.amdhsa_kernel bluestein_single_back_len1188_dim1_dp_op_CI_CI
		.amdhsa_group_segment_fixed_size 57024
		.amdhsa_private_segment_fixed_size 0
		.amdhsa_kernarg_size 104
		.amdhsa_user_sgpr_count 2
		.amdhsa_user_sgpr_dispatch_ptr 0
		.amdhsa_user_sgpr_queue_ptr 0
		.amdhsa_user_sgpr_kernarg_segment_ptr 1
		.amdhsa_user_sgpr_dispatch_id 0
		.amdhsa_user_sgpr_kernarg_preload_length 0
		.amdhsa_user_sgpr_kernarg_preload_offset 0
		.amdhsa_user_sgpr_private_segment_size 0
		.amdhsa_uses_dynamic_stack 0
		.amdhsa_enable_private_segment 0
		.amdhsa_system_sgpr_workgroup_id_x 1
		.amdhsa_system_sgpr_workgroup_id_y 0
		.amdhsa_system_sgpr_workgroup_id_z 0
		.amdhsa_system_sgpr_workgroup_info 0
		.amdhsa_system_vgpr_workitem_id 0
		.amdhsa_next_free_vgpr 416
		.amdhsa_next_free_sgpr 44
		.amdhsa_accum_offset 256
		.amdhsa_reserve_vcc 1
		.amdhsa_float_round_mode_32 0
		.amdhsa_float_round_mode_16_64 0
		.amdhsa_float_denorm_mode_32 3
		.amdhsa_float_denorm_mode_16_64 3
		.amdhsa_dx10_clamp 1
		.amdhsa_ieee_mode 1
		.amdhsa_fp16_overflow 0
		.amdhsa_tg_split 0
		.amdhsa_exception_fp_ieee_invalid_op 0
		.amdhsa_exception_fp_denorm_src 0
		.amdhsa_exception_fp_ieee_div_zero 0
		.amdhsa_exception_fp_ieee_overflow 0
		.amdhsa_exception_fp_ieee_underflow 0
		.amdhsa_exception_fp_ieee_inexact 0
		.amdhsa_exception_int_div_zero 0
	.end_amdhsa_kernel
	.text
.Lfunc_end0:
	.size	bluestein_single_back_len1188_dim1_dp_op_CI_CI, .Lfunc_end0-bluestein_single_back_len1188_dim1_dp_op_CI_CI
                                        ; -- End function
	.section	.AMDGPU.csdata,"",@progbits
; Kernel info:
; codeLenInByte = 29404
; NumSgprs: 50
; NumVgprs: 256
; NumAgprs: 160
; TotalNumVgprs: 416
; ScratchSize: 0
; MemoryBound: 0
; FloatMode: 240
; IeeeMode: 1
; LDSByteSize: 57024 bytes/workgroup (compile time only)
; SGPRBlocks: 6
; VGPRBlocks: 51
; NumSGPRsForWavesPerEU: 50
; NumVGPRsForWavesPerEU: 416
; AccumOffset: 256
; Occupancy: 1
; WaveLimiterHint : 1
; COMPUTE_PGM_RSRC2:SCRATCH_EN: 0
; COMPUTE_PGM_RSRC2:USER_SGPR: 2
; COMPUTE_PGM_RSRC2:TRAP_HANDLER: 0
; COMPUTE_PGM_RSRC2:TGID_X_EN: 1
; COMPUTE_PGM_RSRC2:TGID_Y_EN: 0
; COMPUTE_PGM_RSRC2:TGID_Z_EN: 0
; COMPUTE_PGM_RSRC2:TIDIG_COMP_CNT: 0
; COMPUTE_PGM_RSRC3_GFX90A:ACCUM_OFFSET: 63
; COMPUTE_PGM_RSRC3_GFX90A:TG_SPLIT: 0
	.text
	.p2alignl 6, 3212836864
	.fill 256, 4, 3212836864
	.type	__hip_cuid_6539ef0d70fc9313,@object ; @__hip_cuid_6539ef0d70fc9313
	.section	.bss,"aw",@nobits
	.globl	__hip_cuid_6539ef0d70fc9313
__hip_cuid_6539ef0d70fc9313:
	.byte	0                               ; 0x0
	.size	__hip_cuid_6539ef0d70fc9313, 1

	.ident	"AMD clang version 19.0.0git (https://github.com/RadeonOpenCompute/llvm-project roc-6.4.0 25133 c7fe45cf4b819c5991fe208aaa96edf142730f1d)"
	.section	".note.GNU-stack","",@progbits
	.addrsig
	.addrsig_sym __hip_cuid_6539ef0d70fc9313
	.amdgpu_metadata
---
amdhsa.kernels:
  - .agpr_count:     160
    .args:
      - .actual_access:  read_only
        .address_space:  global
        .offset:         0
        .size:           8
        .value_kind:     global_buffer
      - .actual_access:  read_only
        .address_space:  global
        .offset:         8
        .size:           8
        .value_kind:     global_buffer
      - .actual_access:  read_only
        .address_space:  global
        .offset:         16
        .size:           8
        .value_kind:     global_buffer
      - .actual_access:  read_only
        .address_space:  global
        .offset:         24
        .size:           8
        .value_kind:     global_buffer
      - .actual_access:  read_only
        .address_space:  global
        .offset:         32
        .size:           8
        .value_kind:     global_buffer
      - .offset:         40
        .size:           8
        .value_kind:     by_value
      - .address_space:  global
        .offset:         48
        .size:           8
        .value_kind:     global_buffer
      - .address_space:  global
        .offset:         56
        .size:           8
        .value_kind:     global_buffer
      - .address_space:  global
        .offset:         64
        .size:           8
        .value_kind:     global_buffer
      - .address_space:  global
        .offset:         72
        .size:           8
        .value_kind:     global_buffer
      - .offset:         80
        .size:           4
        .value_kind:     by_value
      - .address_space:  global
        .offset:         88
        .size:           8
        .value_kind:     global_buffer
      - .address_space:  global
        .offset:         96
        .size:           8
        .value_kind:     global_buffer
    .group_segment_fixed_size: 57024
    .kernarg_segment_align: 8
    .kernarg_segment_size: 104
    .language:       OpenCL C
    .language_version:
      - 2
      - 0
    .max_flat_workgroup_size: 198
    .name:           bluestein_single_back_len1188_dim1_dp_op_CI_CI
    .private_segment_fixed_size: 0
    .sgpr_count:     50
    .sgpr_spill_count: 0
    .symbol:         bluestein_single_back_len1188_dim1_dp_op_CI_CI.kd
    .uniform_work_group_size: 1
    .uses_dynamic_stack: false
    .vgpr_count:     416
    .vgpr_spill_count: 0
    .wavefront_size: 64
amdhsa.target:   amdgcn-amd-amdhsa--gfx950
amdhsa.version:
  - 1
  - 2
...

	.end_amdgpu_metadata
